;; amdgpu-corpus repo=ROCm/rocFFT kind=compiled arch=gfx1030 opt=O3
	.text
	.amdgcn_target "amdgcn-amd-amdhsa--gfx1030"
	.amdhsa_code_object_version 6
	.protected	bluestein_single_fwd_len572_dim1_sp_op_CI_CI ; -- Begin function bluestein_single_fwd_len572_dim1_sp_op_CI_CI
	.globl	bluestein_single_fwd_len572_dim1_sp_op_CI_CI
	.p2align	8
	.type	bluestein_single_fwd_len572_dim1_sp_op_CI_CI,@function
bluestein_single_fwd_len572_dim1_sp_op_CI_CI: ; @bluestein_single_fwd_len572_dim1_sp_op_CI_CI
; %bb.0:
	s_load_dwordx4 s[0:3], s[4:5], 0x28
	v_mul_u32_u24_e32 v1, 0x4ed, v0
	v_mov_b32_e32 v61, 0
	v_lshrrev_b32_e32 v1, 16, v1
	v_add_nc_u32_e32 v60, s6, v1
	s_waitcnt lgkmcnt(0)
	v_cmp_gt_u64_e32 vcc_lo, s[0:1], v[60:61]
	s_and_saveexec_b32 s0, vcc_lo
	s_cbranch_execz .LBB0_23
; %bb.1:
	s_clause 0x1
	s_load_dwordx2 s[14:15], s[4:5], 0x0
	s_load_dwordx2 s[12:13], s[4:5], 0x38
	v_mul_lo_u16 v1, v1, 52
	v_sub_nc_u16 v0, v0, v1
	v_and_b32_e32 v72, 0xffff, v0
	v_cmp_gt_u16_e32 vcc_lo, 44, v0
	v_lshlrev_b32_e32 v71, 3, v72
	s_and_saveexec_b32 s1, vcc_lo
	s_cbranch_execz .LBB0_3
; %bb.2:
	s_load_dwordx2 s[6:7], s[4:5], 0x18
	s_waitcnt lgkmcnt(0)
	v_add_co_u32 v20, s0, s14, v71
	v_add_co_ci_u32_e64 v21, null, s15, 0, s0
	v_add_nc_u32_e32 v54, 0x800, v71
	v_add_co_u32 v18, s0, 0x800, v20
	v_add_co_ci_u32_e64 v19, s0, 0, v21, s0
	v_add_co_u32 v20, s0, 0x1000, v20
	v_add_co_ci_u32_e64 v21, s0, 0, v21, s0
	s_load_dwordx4 s[8:11], s[6:7], 0x0
	s_waitcnt lgkmcnt(0)
	v_mad_u64_u32 v[0:1], null, s10, v60, 0
	v_mad_u64_u32 v[2:3], null, s8, v72, 0
	s_mul_i32 s6, s9, 0x160
	s_mul_hi_u32 s7, s8, 0x160
	s_add_i32 s7, s7, s6
	v_mad_u64_u32 v[4:5], null, s11, v60, v[1:2]
	s_clause 0x2
	global_load_dwordx2 v[5:6], v71, s[14:15]
	global_load_dwordx2 v[7:8], v71, s[14:15] offset:352
	global_load_dwordx2 v[9:10], v71, s[14:15] offset:704
	v_mad_u64_u32 v[11:12], null, s9, v72, v[3:4]
	v_mov_b32_e32 v1, v4
	s_clause 0x7
	global_load_dwordx2 v[12:13], v71, s[14:15] offset:1056
	global_load_dwordx2 v[14:15], v71, s[14:15] offset:1408
	;; [unrolled: 1-line block ×3, first 2 shown]
	global_load_dwordx2 v[22:23], v[18:19], off offset:64
	global_load_dwordx2 v[24:25], v[18:19], off offset:416
	;; [unrolled: 1-line block ×5, first 2 shown]
	v_lshlrev_b64 v[0:1], 3, v[0:1]
	v_mov_b32_e32 v3, v11
	v_add_co_u32 v0, s0, s2, v0
	v_lshlrev_b64 v[2:3], 3, v[2:3]
	v_add_co_ci_u32_e64 v1, s0, s3, v1, s0
	s_mul_i32 s2, s8, 0x160
	v_add_co_u32 v0, s0, v0, v2
	v_add_co_ci_u32_e64 v1, s0, v1, v3, s0
	v_add_co_u32 v2, s0, v0, s2
	v_add_co_ci_u32_e64 v3, s0, s7, v1, s0
	global_load_dwordx2 v[0:1], v[0:1], off
	v_add_co_u32 v30, s0, v2, s2
	v_add_co_ci_u32_e64 v31, s0, s7, v3, s0
	v_add_co_u32 v34, s0, v30, s2
	v_add_co_ci_u32_e64 v35, s0, s7, v31, s0
	v_add_co_u32 v36, s0, v34, s2
	v_add_co_ci_u32_e64 v37, s0, s7, v35, s0
	s_clause 0x2
	global_load_dwordx2 v[2:3], v[2:3], off
	global_load_dwordx2 v[30:31], v[30:31], off
	;; [unrolled: 1-line block ×3, first 2 shown]
	v_add_co_u32 v38, s0, v36, s2
	v_add_co_ci_u32_e64 v39, s0, s7, v37, s0
	global_load_dwordx2 v[36:37], v[36:37], off
	v_add_co_u32 v40, s0, v38, s2
	v_add_co_ci_u32_e64 v41, s0, s7, v39, s0
	global_load_dwordx2 v[38:39], v[38:39], off
	v_add_co_u32 v42, s0, v40, s2
	v_add_co_ci_u32_e64 v43, s0, s7, v41, s0
	global_load_dwordx2 v[40:41], v[40:41], off
	v_add_co_u32 v44, s0, v42, s2
	v_add_co_ci_u32_e64 v45, s0, s7, v43, s0
	global_load_dwordx2 v[42:43], v[42:43], off
	v_add_co_u32 v46, s0, v44, s2
	v_add_co_ci_u32_e64 v47, s0, s7, v45, s0
	global_load_dwordx2 v[44:45], v[44:45], off
	v_add_co_u32 v48, s0, v46, s2
	v_add_co_ci_u32_e64 v49, s0, s7, v47, s0
	global_load_dwordx2 v[46:47], v[46:47], off
	v_add_co_u32 v50, s0, v48, s2
	v_add_co_ci_u32_e64 v51, s0, s7, v49, s0
	global_load_dwordx2 v[48:49], v[48:49], off
	v_add_co_u32 v52, s0, v50, s2
	v_add_co_ci_u32_e64 v53, s0, s7, v51, s0
	global_load_dwordx2 v[18:19], v[18:19], off offset:1824
	global_load_dwordx2 v[50:51], v[50:51], off
	global_load_dwordx2 v[20:21], v[20:21], off offset:128
	global_load_dwordx2 v[52:53], v[52:53], off
	s_waitcnt vmcnt(14)
	v_mul_f32_e32 v4, v1, v6
	v_mul_f32_e32 v11, v0, v6
	v_fmac_f32_e32 v4, v0, v5
	v_fma_f32 v5, v1, v5, -v11
	s_waitcnt vmcnt(13)
	v_mul_f32_e32 v6, v3, v8
	v_mul_f32_e32 v1, v2, v8
	s_waitcnt vmcnt(12)
	v_mul_f32_e32 v0, v31, v10
	v_mul_f32_e32 v8, v30, v10
	s_waitcnt vmcnt(11)
	v_mul_f32_e32 v10, v34, v13
	v_fmac_f32_e32 v6, v2, v7
	v_mul_f32_e32 v2, v35, v13
	v_fma_f32 v7, v3, v7, -v1
	v_fmac_f32_e32 v0, v30, v9
	v_fma_f32 v1, v31, v9, -v8
	v_fma_f32 v3, v35, v12, -v10
	v_fmac_f32_e32 v2, v34, v12
	ds_write2_b64 v71, v[4:5], v[6:7] offset1:44
	s_waitcnt vmcnt(10)
	v_mul_f32_e32 v8, v37, v15
	v_mul_f32_e32 v9, v36, v15
	s_waitcnt vmcnt(9)
	v_mul_f32_e32 v4, v39, v17
	ds_write2_b64 v71, v[0:1], v[2:3] offset0:88 offset1:132
	v_mul_f32_e32 v1, v38, v17
	s_waitcnt vmcnt(8)
	v_mul_f32_e32 v3, v40, v23
	v_mul_f32_e32 v0, v41, v23
	v_fmac_f32_e32 v8, v36, v14
	v_fma_f32 v9, v37, v14, -v9
	s_waitcnt vmcnt(7)
	v_mul_f32_e32 v7, v42, v25
	v_mul_f32_e32 v2, v43, v25
	v_fma_f32 v5, v39, v16, -v1
	v_fma_f32 v1, v41, v22, -v3
	v_fmac_f32_e32 v4, v38, v16
	s_waitcnt vmcnt(6)
	v_mul_f32_e32 v6, v45, v27
	v_fma_f32 v3, v43, v24, -v7
	v_mul_f32_e32 v7, v44, v27
	v_fmac_f32_e32 v0, v40, v22
	v_fmac_f32_e32 v2, v42, v24
	s_waitcnt vmcnt(5)
	v_mul_f32_e32 v10, v47, v29
	v_mul_f32_e32 v11, v46, v29
	v_fmac_f32_e32 v6, v44, v26
	v_fma_f32 v7, v45, v26, -v7
	s_waitcnt vmcnt(4)
	v_mul_f32_e32 v12, v49, v33
	v_mul_f32_e32 v13, v48, v33
	v_fmac_f32_e32 v10, v46, v28
	s_waitcnt vmcnt(2)
	v_mul_f32_e32 v14, v51, v19
	v_mul_f32_e32 v15, v50, v19
	s_waitcnt vmcnt(0)
	v_mul_f32_e32 v16, v53, v21
	v_mul_f32_e32 v17, v52, v21
	v_fma_f32 v11, v47, v28, -v11
	v_fmac_f32_e32 v12, v48, v32
	v_fma_f32 v13, v49, v32, -v13
	v_fmac_f32_e32 v14, v50, v18
	;; [unrolled: 2-line block ×3, first 2 shown]
	v_fma_f32 v17, v53, v20, -v17
	ds_write2_b64 v71, v[8:9], v[4:5] offset0:176 offset1:220
	ds_write2_b64 v54, v[0:1], v[2:3] offset0:8 offset1:52
	;; [unrolled: 1-line block ×4, first 2 shown]
	ds_write_b64 v71, v[16:17] offset:4224
.LBB0_3:
	s_or_b32 exec_lo, exec_lo, s1
	s_clause 0x1
	s_load_dwordx2 s[0:1], s[4:5], 0x20
	s_load_dwordx2 s[2:3], s[4:5], 0x8
	v_mov_b32_e32 v4, 0
	v_mov_b32_e32 v5, 0
	s_waitcnt lgkmcnt(0)
	s_barrier
	buffer_gl0_inv
                                        ; implicit-def: $vgpr10
                                        ; implicit-def: $vgpr2
                                        ; implicit-def: $vgpr24
                                        ; implicit-def: $vgpr14
                                        ; implicit-def: $vgpr18
                                        ; implicit-def: $vgpr22
	s_and_saveexec_b32 s4, vcc_lo
	s_cbranch_execz .LBB0_5
; %bb.4:
	v_add_nc_u32_e32 v0, 0x800, v71
	ds_read2_b64 v[4:7], v71 offset1:44
	ds_read2_b64 v[20:23], v71 offset0:88 offset1:132
	ds_read2_b64 v[16:19], v71 offset0:176 offset1:220
	;; [unrolled: 1-line block ×5, first 2 shown]
	ds_read_b64 v[24:25], v71 offset:4224
.LBB0_5:
	s_or_b32 exec_lo, exec_lo, s4
	s_waitcnt lgkmcnt(0)
	v_sub_f32_e32 v77, v7, v25
	v_sub_f32_e32 v55, v6, v24
	v_add_f32_e32 v28, v24, v6
	v_sub_f32_e32 v79, v21, v3
	v_add_f32_e32 v30, v25, v7
	v_mul_f32_e32 v40, 0xbeedf032, v77
	v_mul_f32_e32 v45, 0xbeedf032, v55
	v_add_f32_e32 v29, v2, v20
	v_sub_f32_e32 v54, v20, v2
	v_mul_f32_e32 v42, 0xbf52af12, v79
	v_fmamk_f32 v26, v28, 0x3f62ad3f, v40
	v_fma_f32 v27, 0x3f62ad3f, v30, -v45
	v_add_f32_e32 v31, v3, v21
	v_mul_f32_e32 v47, 0xbf52af12, v54
	v_sub_f32_e32 v80, v23, v1
	v_add_f32_e32 v26, v26, v4
	v_fmamk_f32 v33, v29, 0x3f116cb1, v42
	v_sub_f32_e32 v57, v22, v0
	v_add_f32_e32 v27, v27, v5
	v_fma_f32 v34, 0x3f116cb1, v31, -v47
	v_add_f32_e32 v32, v0, v22
	v_mul_f32_e32 v43, 0xbf7e222b, v80
	v_add_f32_e32 v26, v33, v26
	v_add_f32_e32 v33, v1, v23
	v_mul_f32_e32 v50, 0xbf7e222b, v57
	v_sub_f32_e32 v81, v17, v15
	v_sub_f32_e32 v63, v16, v14
	v_add_f32_e32 v27, v34, v27
	v_fmamk_f32 v34, v32, 0x3df6dbef, v43
	v_fma_f32 v35, 0x3df6dbef, v33, -v50
	v_add_f32_e32 v36, v14, v16
	v_add_f32_e32 v37, v15, v17
	v_mul_f32_e32 v44, 0xbf6f5d39, v81
	v_mul_f32_e32 v49, 0xbf6f5d39, v63
	v_sub_f32_e32 v83, v19, v13
	v_sub_f32_e32 v69, v18, v12
	v_add_f32_e32 v26, v34, v26
	v_add_f32_e32 v27, v35, v27
	v_fmamk_f32 v34, v36, 0xbeb58ec6, v44
	v_add_f32_e32 v38, v12, v18
	v_mul_f32_e32 v46, 0xbf29c268, v83
	v_fma_f32 v35, 0xbeb58ec6, v37, -v49
	v_add_f32_e32 v39, v13, v19
	v_mul_f32_e32 v51, 0xbf29c268, v69
	v_add_f32_e32 v26, v34, v26
	v_fmamk_f32 v34, v38, 0xbf3f9e67, v46
	v_add_f32_e32 v27, v35, v27
	v_mul_f32_e32 v58, 0xbf52af12, v77
	v_fma_f32 v35, 0xbf3f9e67, v39, -v51
	v_mul_f32_e32 v75, 0xbf52af12, v55
	v_add_f32_e32 v26, v34, v26
	v_mul_f32_e32 v64, 0xbf6f5d39, v79
	v_fmamk_f32 v34, v28, 0x3f116cb1, v58
	v_add_f32_e32 v27, v35, v27
	v_fma_f32 v35, 0x3f116cb1, v30, -v75
	v_mul_f32_e32 v76, 0xbf6f5d39, v54
	v_fmamk_f32 v48, v29, 0xbeb58ec6, v64
	v_add_f32_e32 v34, v34, v4
	v_mul_f32_e32 v65, 0xbe750f2a, v80
	v_add_f32_e32 v35, v35, v5
	v_fma_f32 v53, 0xbeb58ec6, v31, -v76
	v_mul_f32_e32 v74, 0xbe750f2a, v57
	v_add_f32_e32 v34, v48, v34
	v_mul_f32_e32 v66, 0x3f29c268, v81
	v_mul_f32_e32 v70, 0x3f29c268, v63
	v_add_f32_e32 v35, v53, v35
	v_fmamk_f32 v53, v32, 0xbf788fa5, v65
	v_fma_f32 v56, 0xbf788fa5, v33, -v74
	v_sub_f32_e32 v82, v9, v11
	v_sub_f32_e32 v78, v8, v10
	v_fma_f32 v62, 0xbf3f9e67, v37, -v70
	v_add_f32_e32 v34, v53, v34
	v_add_f32_e32 v35, v56, v35
	v_fmamk_f32 v56, v36, 0xbf3f9e67, v66
	v_mul_f32_e32 v59, 0x3f7e222b, v83
	v_mul_f32_e32 v68, 0x3f7e222b, v69
	v_add_f32_e32 v41, v10, v8
	v_mul_f32_e32 v52, 0xbe750f2a, v82
	v_add_f32_e32 v48, v11, v9
	;; [unrolled: 2-line block ×3, first 2 shown]
	v_add_f32_e32 v35, v62, v35
	v_fmamk_f32 v62, v38, 0x3df6dbef, v59
	v_fma_f32 v73, 0x3df6dbef, v39, -v68
	v_mul_f32_e32 v56, 0x3eedf032, v82
	v_mul_f32_e32 v67, 0x3eedf032, v78
	v_fmamk_f32 v61, v41, 0xbf788fa5, v52
	v_fma_f32 v84, 0xbf788fa5, v48, -v53
	v_add_f32_e32 v34, v62, v34
	v_add_f32_e32 v35, v73, v35
	v_fmamk_f32 v73, v41, 0x3f62ad3f, v56
	v_fma_f32 v85, 0x3f62ad3f, v48, -v67
	v_add_f32_e32 v61, v61, v26
	v_add_f32_e32 v62, v84, v27
	;; [unrolled: 1-line block ×4, first 2 shown]
	v_mul_lo_u16 v73, v72, 13
	s_barrier
	buffer_gl0_inv
	s_and_saveexec_b32 s4, vcc_lo
	s_cbranch_execz .LBB0_7
; %bb.6:
	v_mul_f32_e32 v88, 0x3df6dbef, v30
	v_mul_f32_e32 v89, 0xbf7e222b, v77
	;; [unrolled: 1-line block ×5, first 2 shown]
	v_fmamk_f32 v26, v55, 0x3f7e222b, v88
	v_fmamk_f32 v27, v28, 0x3df6dbef, v89
	;; [unrolled: 1-line block ×3, first 2 shown]
	v_mul_f32_e32 v93, 0x3f6f5d39, v80
	v_mul_f32_e32 v94, 0x3f62ad3f, v37
	v_add_f32_e32 v26, v26, v5
	v_fmamk_f32 v85, v29, 0xbf788fa5, v91
	v_add_f32_e32 v27, v27, v4
	v_fmamk_f32 v86, v57, 0xbf6f5d39, v92
	v_mul_f32_e32 v95, 0x3eedf032, v81
	v_add_f32_e32 v26, v84, v26
	v_fmamk_f32 v84, v32, 0xbeb58ec6, v93
	v_add_f32_e32 v27, v85, v27
	v_fmamk_f32 v85, v63, 0xbeedf032, v94
	v_mul_f32_e32 v96, 0x3f116cb1, v39
	v_add_f32_e32 v26, v86, v26
	v_mul_f32_e32 v86, 0xbeb58ec6, v30
	v_fmamk_f32 v87, v36, 0x3f62ad3f, v95
	v_add_f32_e32 v27, v84, v27
	v_fmamk_f32 v84, v69, 0x3f52af12, v96
	v_add_f32_e32 v26, v85, v26
	v_mul_f32_e32 v97, 0xbf52af12, v83
	v_mul_f32_e32 v98, 0xbf3f9e67, v48
	v_fmamk_f32 v85, v55, 0x3f6f5d39, v86
	v_mul_f32_e32 v99, 0xbf3f9e67, v31
	v_add_f32_e32 v27, v87, v27
	v_add_f32_e32 v26, v84, v26
	v_fmamk_f32 v84, v38, 0x3f116cb1, v97
	v_fmamk_f32 v87, v78, 0x3f29c268, v98
	v_add_f32_e32 v85, v85, v5
	v_fmamk_f32 v100, v54, 0xbf29c268, v99
	v_mul_f32_e32 v101, 0x3f62ad3f, v33
	v_mul_f32_e32 v102, 0xbf6f5d39, v77
	v_add_f32_e32 v84, v84, v27
	v_add_f32_e32 v27, v87, v26
	;; [unrolled: 1-line block ×3, first 2 shown]
	v_fmamk_f32 v85, v57, 0xbeedf032, v101
	v_mul_f32_e32 v100, 0x3df6dbef, v37
	v_fmamk_f32 v87, v28, 0xbeb58ec6, v102
	v_mul_f32_e32 v104, 0x3f29c268, v79
	v_mul_f32_e32 v103, 0xbf29c268, v82
	v_add_f32_e32 v26, v85, v26
	v_fmamk_f32 v85, v63, 0x3f7e222b, v100
	v_mul_f32_e32 v105, 0xbf788fa5, v39
	v_add_f32_e32 v87, v87, v4
	v_fmamk_f32 v106, v29, 0xbf3f9e67, v104
	v_mul_f32_e32 v107, 0x3eedf032, v80
	v_fmamk_f32 v108, v41, 0xbf3f9e67, v103
	v_add_f32_e32 v85, v85, v26
	v_fmamk_f32 v109, v69, 0xbe750f2a, v105
	v_add_f32_e32 v87, v106, v87
	v_fmamk_f32 v106, v32, 0x3f62ad3f, v107
	v_mul_f32_e32 v110, 0xbf7e222b, v81
	v_add_f32_e32 v26, v108, v84
	v_add_f32_e32 v84, v109, v85
	v_mul_f32_e32 v108, 0xbe750f2a, v55
	v_add_f32_e32 v85, v106, v87
	v_fmamk_f32 v87, v36, 0x3df6dbef, v110
	v_mul_f32_e32 v106, 0x3e750f2a, v83
	v_mul_f32_e32 v109, 0x3f116cb1, v48
	v_fmamk_f32 v111, v30, 0xbf788fa5, v108
	v_mul_f32_e32 v112, 0x3eedf032, v54
	v_add_f32_e32 v85, v87, v85
	v_fmamk_f32 v87, v38, 0xbf788fa5, v106
	v_fmamk_f32 v113, v78, 0xbf52af12, v109
	v_add_f32_e32 v111, v111, v5
	v_fmamk_f32 v114, v31, 0x3f62ad3f, v112
	v_mul_f32_e32 v115, 0xbf29c268, v57
	v_add_f32_e32 v87, v87, v85
	v_add_f32_e32 v85, v113, v84
	v_mul_f32_e32 v113, 0xbe750f2a, v77
	v_add_f32_e32 v84, v114, v111
	v_fmamk_f32 v111, v33, 0xbf3f9e67, v115
	v_mul_f32_e32 v114, 0x3f52af12, v63
	v_mul_f32_e32 v116, 0x3f52af12, v82
	v_fma_f32 v117, 0xbf788fa5, v28, -v113
	v_mul_f32_e32 v118, 0x3eedf032, v79
	v_fmac_f32_e32 v86, 0xbf6f5d39, v55
	v_add_f32_e32 v84, v111, v84
	v_fmamk_f32 v111, v37, 0x3f116cb1, v114
	v_mul_f32_e32 v119, 0xbf6f5d39, v69
	v_add_f32_e32 v117, v117, v4
	v_fma_f32 v120, 0x3f62ad3f, v29, -v118
	v_mul_f32_e32 v121, 0xbf29c268, v80
	v_fmamk_f32 v122, v41, 0x3f116cb1, v116
	v_add_f32_e32 v86, v86, v5
	v_fmac_f32_e32 v99, 0x3f29c268, v54
	v_fma_f32 v102, 0xbeb58ec6, v28, -v102
	v_add_f32_e32 v111, v111, v84
	v_fmamk_f32 v123, v39, 0xbeb58ec6, v119
	v_add_f32_e32 v117, v120, v117
	v_fma_f32 v120, 0xbf3f9e67, v32, -v121
	v_mul_f32_e32 v124, 0x3f52af12, v81
	v_add_f32_e32 v84, v122, v87
	v_mul_f32_e32 v87, 0xbf3f9e67, v30
	v_add_f32_e32 v86, v99, v86
	v_add_f32_e32 v99, v102, v4
	v_fma_f32 v102, 0xbf3f9e67, v29, -v104
	v_add_f32_e32 v111, v123, v111
	v_add_f32_e32 v117, v120, v117
	v_fma_f32 v120, 0x3f116cb1, v36, -v124
	v_mul_f32_e32 v122, 0xbf6f5d39, v83
	v_fmamk_f32 v123, v55, 0x3f29c268, v87
	v_fmac_f32_e32 v87, 0xbf29c268, v55
	v_mul_f32_e32 v125, 0x3df6dbef, v31
	v_add_f32_e32 v99, v102, v99
	v_fma_f32 v102, 0x3f62ad3f, v32, -v107
	v_add_f32_e32 v117, v120, v117
	v_fma_f32 v120, 0xbeb58ec6, v38, -v122
	v_mul_f32_e32 v126, 0x3f7e222b, v78
	v_add_f32_e32 v87, v87, v5
	v_fmamk_f32 v127, v54, 0xbf7e222b, v125
	v_fmac_f32_e32 v125, 0x3f7e222b, v54
	v_mul_f32_e32 v128, 0x3f116cb1, v33
	v_mul_f32_e32 v77, 0xbf29c268, v77
	v_fmac_f32_e32 v101, 0x3eedf032, v57
	v_add_f32_e32 v99, v102, v99
	v_fmac_f32_e32 v88, 0xbf7e222b, v55
	v_fma_f32 v55, 0x3df6dbef, v36, -v110
	v_fma_f32 v89, 0x3df6dbef, v28, -v89
	v_add_f32_e32 v117, v120, v117
	v_fmamk_f32 v120, v48, 0x3df6dbef, v126
	v_add_f32_e32 v125, v125, v87
	v_fmamk_f32 v129, v57, 0x3f52af12, v128
	v_fmac_f32_e32 v128, 0xbf52af12, v57
	v_fma_f32 v130, 0xbf3f9e67, v28, -v77
	v_mul_f32_e32 v131, 0x3f7e222b, v79
	v_mul_f32_e32 v79, 0xbf788fa5, v37
	v_add_f32_e32 v101, v101, v86
	v_fmac_f32_e32 v100, 0xbf7e222b, v63
	v_fmac_f32_e32 v90, 0xbe750f2a, v54
	v_add_f32_e32 v54, v88, v5
	v_add_f32_e32 v55, v55, v99
	v_fma_f32 v88, 0xbf788fa5, v38, -v106
	v_add_f32_e32 v89, v89, v4
	v_fma_f32 v91, 0xbf788fa5, v29, -v91
	v_add_f32_e32 v87, v120, v111
	v_add_f32_e32 v111, v128, v125
	v_add_f32_e32 v120, v130, v4
	v_mul_f32_e32 v128, 0xbf52af12, v80
	v_fmamk_f32 v130, v63, 0xbe750f2a, v79
	v_fmac_f32_e32 v79, 0x3e750f2a, v63
	v_mul_f32_e32 v80, 0x3f62ad3f, v39
	v_add_f32_e32 v100, v100, v101
	v_fmac_f32_e32 v105, 0x3e750f2a, v69
	v_add_f32_e32 v54, v90, v54
	v_fmac_f32_e32 v92, 0x3f6f5d39, v57
	v_add_f32_e32 v88, v88, v55
	v_add_f32_e32 v55, v91, v89
	v_fma_f32 v89, 0xbeb58ec6, v32, -v93
	v_add_f32_e32 v79, v79, v111
	v_fmamk_f32 v111, v69, 0xbeedf032, v80
	v_fmac_f32_e32 v80, 0x3eedf032, v69
	v_add_f32_e32 v57, v105, v100
	v_add_f32_e32 v54, v92, v54
	v_fmac_f32_e32 v94, 0x3eedf032, v63
	v_fmac_f32_e32 v109, 0x3f52af12, v78
	v_add_f32_e32 v89, v89, v55
	v_fma_f32 v90, 0x3f62ad3f, v36, -v95
	v_fmac_f32_e32 v96, 0xbf52af12, v69
	v_add_f32_e32 v69, v123, v5
	v_fma_f32 v63, 0x3f116cb1, v41, -v116
	v_add_f32_e32 v54, v94, v54
	v_add_f32_e32 v55, v109, v57
	v_add_f32_e32 v57, v90, v89
	v_fma_f32 v89, 0x3f116cb1, v38, -v97
	v_add_f32_e32 v69, v127, v69
	v_add_f32_e32 v90, v96, v54
	;; [unrolled: 4-line block ×3, first 2 shown]
	v_mul_f32_e32 v88, 0x3f116cb1, v30
	v_fmamk_f32 v89, v28, 0xbf3f9e67, v77
	v_add_f32_e32 v7, v7, v5
	v_add_f32_e32 v77, v63, v57
	;; [unrolled: 1-line block ×3, first 2 shown]
	v_mul_f32_e32 v63, 0xbeb58ec6, v31
	v_add_f32_e32 v69, v75, v88
	v_add_f32_e32 v75, v89, v4
	v_fmamk_f32 v88, v29, 0x3df6dbef, v131
	v_add_f32_e32 v7, v21, v7
	v_add_f32_e32 v63, v76, v63
	;; [unrolled: 1-line block ×3, first 2 shown]
	v_mul_f32_e32 v76, 0xbf788fa5, v33
	v_add_f32_e32 v75, v88, v75
	v_mul_f32_e32 v88, 0x3f116cb1, v28
	v_add_f32_e32 v7, v23, v7
	v_add_f32_e32 v63, v63, v69
	;; [unrolled: 1-line block ×3, first 2 shown]
	v_mul_f32_e32 v74, 0xbeb58ec6, v29
	v_sub_f32_e32 v58, v88, v58
	v_mul_f32_e32 v76, 0xbf3f9e67, v37
	v_add_f32_e32 v7, v17, v7
	v_add_f32_e32 v63, v69, v63
	v_sub_f32_e32 v64, v74, v64
	v_add_f32_e32 v58, v58, v4
	v_mul_f32_e32 v69, 0xbf788fa5, v32
	v_add_f32_e32 v70, v70, v76
	v_add_f32_e32 v7, v19, v7
	v_fmac_f32_e32 v113, 0xbf788fa5, v28
	v_add_f32_e32 v58, v64, v58
	v_sub_f32_e32 v65, v69, v65
	v_mul_f32_e32 v69, 0xbf3f9e67, v36
	v_mul_f32_e32 v64, 0x3df6dbef, v39
	v_add_f32_e32 v63, v70, v63
	v_add_f32_e32 v7, v9, v7
	;; [unrolled: 1-line block ×3, first 2 shown]
	v_sub_f32_e32 v65, v69, v66
	v_add_f32_e32 v64, v68, v64
	v_mul_f32_e32 v68, 0x3f62ad3f, v30
	v_mul_f32_e32 v69, 0x3f116cb1, v31
	v_add_f32_e32 v7, v11, v7
	v_add_f32_e32 v58, v65, v58
	v_mul_f32_e32 v65, 0x3f62ad3f, v48
	v_add_f32_e32 v63, v64, v63
	v_mul_f32_e32 v64, 0x3df6dbef, v38
	v_add_f32_e32 v45, v45, v68
	v_add_f32_e32 v47, v47, v69
	;; [unrolled: 1-line block ×3, first 2 shown]
	v_mul_f32_e32 v67, 0x3f116cb1, v29
	v_sub_f32_e32 v59, v64, v59
	v_mul_f32_e32 v64, 0x3f62ad3f, v28
	v_add_f32_e32 v45, v45, v5
	v_add_f32_e32 v7, v13, v7
	v_sub_f32_e32 v42, v67, v42
	v_mul_f32_e32 v67, 0xbeb58ec6, v37
	v_sub_f32_e32 v40, v64, v40
	v_add_f32_e32 v58, v59, v58
	v_mul_f32_e32 v59, 0x3df6dbef, v33
	v_add_f32_e32 v45, v47, v45
	v_add_f32_e32 v21, v49, v67
	;; [unrolled: 1-line block ×3, first 2 shown]
	v_mul_f32_e32 v47, 0x3df6dbef, v32
	v_add_f32_e32 v40, v40, v4
	v_fma_f32 v125, 0x3df6dbef, v29, -v131
	v_add_f32_e32 v7, v15, v7
	v_add_f32_e32 v23, v20, v49
	;; [unrolled: 1-line block ×3, first 2 shown]
	v_fmac_f32_e32 v118, 0x3f62ad3f, v29
	v_mul_f32_e32 v64, 0x3f62ad3f, v41
	v_add_f32_e32 v50, v50, v59
	v_add_f32_e32 v22, v22, v23
	v_mul_f32_e32 v59, 0xbeb58ec6, v36
	v_add_f32_e32 v40, v42, v40
	v_sub_f32_e32 v43, v47, v43
	v_add_f32_e32 v120, v125, v120
	v_add_f32_e32 v16, v16, v22
	v_fma_f32 v125, 0x3f116cb1, v32, -v128
	v_mul_f32_e32 v81, 0x3e750f2a, v81
	v_add_f32_e32 v1, v1, v7
	v_add_f32_e32 v4, v118, v4
	;; [unrolled: 1-line block ×3, first 2 shown]
	v_fmac_f32_e32 v121, 0xbf3f9e67, v32
	v_fmamk_f32 v89, v32, 0x3f116cb1, v128
	v_sub_f32_e32 v56, v64, v56
	v_mul_f32_e32 v64, 0xbf3f9e67, v38
	v_add_f32_e32 v11, v8, v16
	v_fma_f32 v16, 0xbf788fa5, v30, -v108
	v_add_f32_e32 v45, v50, v45
	v_mul_f32_e32 v42, 0xbf3f9e67, v39
	v_add_f32_e32 v40, v43, v40
	v_add_f32_e32 v10, v10, v11
	;; [unrolled: 1-line block ×3, first 2 shown]
	v_fma_f32 v11, 0x3f62ad3f, v31, -v112
	v_sub_f32_e32 v17, v59, v44
	v_add_f32_e32 v120, v125, v120
	v_add_f32_e32 v10, v12, v10
	v_fma_f32 v125, 0xbf788fa5, v36, -v81
	v_add_f32_e32 v5, v11, v5
	v_fma_f32 v11, 0xbf3f9e67, v33, -v115
	v_mul_f32_e32 v83, 0x3eedf032, v83
	v_add_f32_e32 v7, v14, v10
	v_fma_f32 v10, 0x3f116cb1, v37, -v114
	v_add_f32_e32 v1, v3, v1
	v_add_f32_e32 v5, v11, v5
	;; [unrolled: 1-line block ×3, first 2 shown]
	v_fmac_f32_e32 v124, 0x3f116cb1, v36
	v_add_f32_e32 v75, v89, v75
	v_fmamk_f32 v81, v36, 0xbf788fa5, v81
	v_mul_f32_e32 v47, 0xbf788fa5, v41
	v_mul_f32_e32 v43, 0xbf788fa5, v48
	v_add_f32_e32 v21, v21, v45
	v_add_f32_e32 v23, v51, v42
	;; [unrolled: 1-line block ×3, first 2 shown]
	v_sub_f32_e32 v19, v64, v46
	v_add_f32_e32 v0, v0, v7
	v_add_f32_e32 v4, v10, v5
	v_fma_f32 v5, 0xbeb58ec6, v39, -v119
	v_mul_f32_e32 v132, 0x3f7e222b, v82
	v_add_f32_e32 v120, v125, v120
	v_fma_f32 v125, 0x3f62ad3f, v38, -v83
	v_add_f32_e32 v79, v80, v79
	v_mul_f32_e32 v80, 0xbeb58ec6, v48
	v_mul_f32_e32 v82, 0xbf6f5d39, v82
	v_add_f32_e32 v3, v124, v3
	v_fmac_f32_e32 v122, 0xbeb58ec6, v38
	v_add_f32_e32 v74, v81, v75
	v_fmamk_f32 v75, v38, 0x3f62ad3f, v83
	v_add_f32_e32 v21, v23, v21
	v_add_f32_e32 v9, v53, v43
	;; [unrolled: 1-line block ×3, first 2 shown]
	v_sub_f32_e32 v18, v47, v52
	v_add_f32_e32 v0, v2, v0
	v_add_f32_e32 v2, v5, v4
	v_mov_b32_e32 v4, 3
	v_fmac_f32_e32 v98, 0xbf29c268, v78
	v_add_f32_e32 v120, v125, v120
	v_fmamk_f32 v125, v78, 0x3f6f5d39, v80
	v_fmac_f32_e32 v80, 0xbf6f5d39, v78
	v_fma_f32 v104, 0xbeb58ec6, v41, -v82
	v_fma_f32 v133, 0x3df6dbef, v41, -v132
	;; [unrolled: 1-line block ×3, first 2 shown]
	v_add_f32_e32 v7, v122, v3
	v_fmac_f32_e32 v132, 0x3df6dbef, v41
	v_add_f32_e32 v57, v111, v57
	v_add_f32_e32 v66, v75, v74
	v_fmamk_f32 v49, v41, 0xbeb58ec6, v82
	v_add_f32_e32 v9, v9, v21
	v_add_f32_e32 v8, v18, v17
	;; [unrolled: 1-line block ×4, first 2 shown]
	v_lshlrev_b32_sdwa v4, v4, v73 dst_sel:DWORD dst_unused:UNUSED_PAD src0_sel:DWORD src1_sel:WORD_0
	v_add_f32_e32 v78, v98, v90
	v_add_f32_e32 v20, v65, v63
	;; [unrolled: 1-line block ×10, first 2 shown]
	ds_write2_b64 v4, v[0:1], v[8:9] offset1:1
	ds_write2_b64 v4, v[19:20], v[77:78] offset0:2 offset1:3
	ds_write2_b64 v4, v[54:55], v[79:80] offset0:4 offset1:5
	;; [unrolled: 1-line block ×5, first 2 shown]
	ds_write_b64 v4, v[61:62] offset:96
.LBB0_7:
	s_or_b32 exec_lo, exec_lo, s4
	v_and_b32_e32 v0, 0xff, v72
	s_load_dwordx4 s[4:7], s[0:1], 0x0
	s_waitcnt lgkmcnt(0)
	s_barrier
	buffer_gl0_inv
	v_mul_lo_u16 v0, 0x4f, v0
	v_add_nc_u32_e32 v28, 0x400, v71
	v_add_nc_u32_e32 v69, 0x800, v71
	v_mov_b32_e32 v33, 0x8f
	v_cmp_gt_u16_e64 s0, 39, v72
	v_lshrrev_b16 v32, 10, v0
	v_mul_lo_u16 v0, v32, 13
	v_mul_u32_u24_sdwa v45, v32, v33 dst_sel:DWORD dst_unused:UNUSED_PAD src0_sel:WORD_0 src1_sel:DWORD
	v_sub_nc_u16 v0, v72, v0
	v_and_b32_e32 v44, 0xff, v0
	v_mul_u32_u24_e32 v0, 10, v44
	v_add_lshl_u32 v74, v45, v44, 3
	v_lshlrev_b32_e32 v8, 3, v0
	s_clause 0x4
	global_load_dwordx4 v[16:19], v8, s[2:3]
	global_load_dwordx4 v[12:15], v8, s[2:3] offset:16
	global_load_dwordx4 v[4:7], v8, s[2:3] offset:32
	;; [unrolled: 1-line block ×4, first 2 shown]
	ds_read2_b64 v[20:23], v71 offset1:52
	ds_read2_b64 v[24:27], v71 offset0:104 offset1:156
	ds_read2_b64 v[28:31], v28 offset0:80 offset1:132
	ds_read2_b64 v[36:39], v69 offset0:56 offset1:108
	ds_read2_b64 v[40:43], v69 offset0:160 offset1:212
	ds_read_b64 v[32:33], v71 offset:4160
	s_waitcnt vmcnt(0) lgkmcnt(0)
	s_barrier
	buffer_gl0_inv
	v_mul_f32_e32 v44, v23, v17
	v_mul_f32_e32 v45, v22, v17
	;; [unrolled: 1-line block ×14, first 2 shown]
	v_fma_f32 v22, v22, v16, -v44
	v_fmac_f32_e32 v45, v23, v16
	v_mul_f32_e32 v51, v28, v15
	v_mul_f32_e32 v55, v36, v7
	;; [unrolled: 1-line block ×6, first 2 shown]
	v_fma_f32 v23, v24, v18, -v46
	v_fmac_f32_e32 v47, v25, v18
	v_fma_f32 v24, v26, v12, -v48
	v_fmac_f32_e32 v49, v27, v12
	v_fma_f32 v25, v28, v14, -v50
	v_fma_f32 v26, v30, v4, -v52
	v_fmac_f32_e32 v53, v31, v4
	v_fma_f32 v27, v36, v6, -v54
	v_fma_f32 v28, v38, v0, -v56
	;; [unrolled: 1-line block ×4, first 2 shown]
	v_fmac_f32_e32 v66, v33, v10
	v_add_f32_e32 v30, v20, v22
	v_add_f32_e32 v31, v21, v45
	v_fmac_f32_e32 v51, v29, v14
	v_fmac_f32_e32 v55, v37, v6
	;; [unrolled: 1-line block ×3, first 2 shown]
	v_fma_f32 v29, v40, v2, -v58
	v_fmac_f32_e32 v59, v41, v2
	v_fmac_f32_e32 v64, v43, v8
	v_add_f32_e32 v32, v22, v38
	v_sub_f32_e32 v22, v22, v38
	v_sub_f32_e32 v37, v45, v66
	v_add_f32_e32 v39, v23, v36
	v_sub_f32_e32 v41, v23, v36
	v_add_f32_e32 v23, v30, v23
	v_add_f32_e32 v30, v31, v47
	;; [unrolled: 1-line block ×4, first 2 shown]
	v_sub_f32_e32 v42, v47, v64
	v_add_f32_e32 v43, v24, v29
	v_sub_f32_e32 v45, v24, v29
	v_sub_f32_e32 v46, v49, v59
	;; [unrolled: 1-line block ×6, first 2 shown]
	v_mul_f32_e32 v31, 0xbf0a6770, v37
	v_mul_f32_e32 v47, 0xbf0a6770, v22
	;; [unrolled: 1-line block ×9, first 2 shown]
	v_add_f32_e32 v23, v23, v24
	v_add_f32_e32 v24, v30, v49
	v_mul_f32_e32 v37, 0xbe903f40, v37
	v_add_f32_e32 v44, v49, v59
	v_add_f32_e32 v48, v25, v28
	;; [unrolled: 1-line block ×5, first 2 shown]
	v_mul_f32_e32 v78, 0xbf68dda4, v42
	v_mul_f32_e32 v79, 0xbf68dda4, v41
	;; [unrolled: 1-line block ×40, first 2 shown]
	v_fma_f32 v30, 0x3f575c64, v32, -v31
	v_fmamk_f32 v49, v33, 0x3f575c64, v47
	v_fmac_f32_e32 v31, 0x3f575c64, v32
	v_fma_f32 v47, 0x3f575c64, v33, -v47
	v_fma_f32 v110, 0x3ed4b147, v32, -v67
	v_fmamk_f32 v111, v33, 0x3ed4b147, v68
	v_fma_f32 v68, 0x3ed4b147, v33, -v68
	v_fma_f32 v112, 0xbe11bafb, v32, -v70
	v_fmamk_f32 v113, v33, 0xbe11bafb, v75
	;; [unrolled: 3-line block ×3, first 2 shown]
	v_fma_f32 v77, 0xbf27a4f4, v33, -v77
	v_fmamk_f32 v117, v33, 0xbf75a155, v22
	v_fma_f32 v22, 0xbf75a155, v33, -v22
	v_add_f32_e32 v23, v23, v25
	v_add_f32_e32 v24, v24, v51
	v_fmac_f32_e32 v67, 0x3ed4b147, v32
	v_fmac_f32_e32 v70, 0xbe11bafb, v32
	;; [unrolled: 1-line block ×3, first 2 shown]
	v_fma_f32 v116, 0xbf75a155, v32, -v37
	v_fmac_f32_e32 v37, 0xbf75a155, v32
	v_fma_f32 v32, 0x3ed4b147, v39, -v78
	v_fmamk_f32 v33, v40, 0x3ed4b147, v79
	v_fmac_f32_e32 v78, 0x3ed4b147, v39
	v_fma_f32 v79, 0x3ed4b147, v40, -v79
	v_fma_f32 v118, 0xbf27a4f4, v39, -v80
	v_fmamk_f32 v119, v40, 0xbf27a4f4, v81
	v_fmac_f32_e32 v80, 0xbf27a4f4, v39
	v_fma_f32 v81, 0xbf27a4f4, v40, -v81
	;; [unrolled: 4-line block ×14, first 2 shown]
	v_fma_f32 v140, 0x3ed4b147, v48, -v54
	v_fmac_f32_e32 v54, 0x3ed4b147, v48
	v_fmamk_f32 v48, v50, 0x3ed4b147, v52
	v_fma_f32 v50, 0x3ed4b147, v50, -v52
	v_fma_f32 v52, 0xbf75a155, v56, -v102
	v_fmac_f32_e32 v102, 0xbf75a155, v56
	v_fma_f32 v141, 0x3f575c64, v56, -v104
	v_fmac_f32_e32 v104, 0x3f575c64, v56
	;; [unrolled: 2-line block ×5, first 2 shown]
	v_fmamk_f32 v56, v58, 0xbf75a155, v103
	v_fma_f32 v103, 0xbf75a155, v58, -v103
	v_fmamk_f32 v145, v58, 0x3f575c64, v105
	v_fma_f32 v105, 0x3f575c64, v58, -v105
	;; [unrolled: 2-line block ×5, first 2 shown]
	v_add_f32_e32 v30, v20, v30
	v_add_f32_e32 v49, v21, v49
	;; [unrolled: 1-line block ×110, first 2 shown]
	ds_write2_b64 v74, v[22:23], v[24:25] offset0:26 offset1:39
	v_add_f32_e32 v22, v39, v38
	v_add_f32_e32 v23, v40, v66
	ds_write2_b64 v74, v[26:27], v[30:31] offset0:52 offset1:65
	ds_write2_b64 v74, v[36:37], v[28:29] offset0:78 offset1:91
	;; [unrolled: 1-line block ×3, first 2 shown]
	ds_write_b64 v74, v[32:33] offset:1040
	ds_write2_b64 v74, v[22:23], v[20:21] offset1:13
	s_waitcnt lgkmcnt(0)
	s_barrier
	buffer_gl0_inv
	ds_read2_b64 v[48:51], v71 offset1:52
	ds_read2_b64 v[36:39], v71 offset0:143 offset1:195
	ds_read2_b64 v[40:43], v69 offset0:30 offset1:82
	;; [unrolled: 1-line block ×3, first 2 shown]
	s_and_saveexec_b32 s1, s0
	s_cbranch_execz .LBB0_9
; %bb.8:
	v_add_nc_u32_e32 v20, 0xc00, v71
	ds_read2_b64 v[44:47], v71 offset0:104 offset1:247
	ds_read2_b64 v[32:35], v20 offset0:6 offset1:149
.LBB0_9:
	s_or_b32 exec_lo, exec_lo, s1
	v_mad_u64_u32 v[20:21], null, v72, 24, s[2:3]
	v_add_nc_u32_e32 v22, 0x68, v72
	v_subrev_nc_u32_e32 v23, 39, v72
	s_clause 0x1
	global_load_dwordx4 v[28:31], v[20:21], off offset:1040
	global_load_dwordx2 v[67:68], v[20:21], off offset:1056
	v_cndmask_b32_e64 v56, v23, v22, s0
	v_add_co_u32 v22, s1, 0x800, v20
	v_add_co_ci_u32_e64 v23, s1, 0, v21, s1
	v_add_co_u32 v20, s1, 0x8f0, v20
	v_add_co_ci_u32_e64 v21, s1, 0, v21, s1
	s_clause 0x1
	global_load_dwordx4 v[24:27], v[22:23], off offset:240
	global_load_dwordx2 v[65:66], v[20:21], off offset:16
	v_mul_i32_i24_e32 v22, 24, v56
	v_mul_hi_i32_i24_e32 v20, 24, v56
	v_add_co_u32 v56, s1, s2, v22
	v_add_co_ci_u32_e64 v57, s1, s3, v20, s1
	s_clause 0x1
	global_load_dwordx4 v[20:23], v[56:57], off offset:1040
	global_load_dwordx2 v[63:64], v[56:57], off offset:1056
	s_waitcnt vmcnt(5) lgkmcnt(2)
	v_mul_f32_e32 v56, v37, v29
	v_mul_f32_e32 v57, v36, v29
	s_waitcnt lgkmcnt(1)
	v_mul_f32_e32 v58, v41, v31
	v_mul_f32_e32 v59, v40, v31
	s_waitcnt vmcnt(4) lgkmcnt(0)
	v_mul_f32_e32 v70, v53, v68
	v_mul_f32_e32 v75, v52, v68
	v_fma_f32 v36, v36, v28, -v56
	v_fmac_f32_e32 v57, v37, v28
	v_fma_f32 v37, v40, v30, -v58
	v_fmac_f32_e32 v59, v41, v30
	;; [unrolled: 2-line block ×3, first 2 shown]
	s_waitcnt vmcnt(3)
	v_mul_f32_e32 v41, v39, v25
	v_mul_f32_e32 v52, v38, v25
	;; [unrolled: 1-line block ×4, first 2 shown]
	s_waitcnt vmcnt(2)
	v_mul_f32_e32 v58, v55, v66
	v_mul_f32_e32 v70, v54, v66
	v_fma_f32 v76, v38, v24, -v41
	v_fmac_f32_e32 v52, v39, v24
	v_fma_f32 v38, v42, v26, -v53
	v_fmac_f32_e32 v56, v43, v26
	;; [unrolled: 2-line block ×3, first 2 shown]
	v_sub_f32_e32 v53, v49, v59
	v_sub_f32_e32 v40, v36, v40
	;; [unrolled: 1-line block ×3, first 2 shown]
	s_waitcnt vmcnt(1)
	v_mul_f32_e32 v54, v47, v21
	v_mul_f32_e32 v55, v46, v21
	v_mul_f32_e32 v58, v33, v23
	v_mul_f32_e32 v59, v32, v23
	s_waitcnt vmcnt(0)
	v_mul_f32_e32 v75, v35, v64
	v_mul_f32_e32 v77, v34, v64
	v_sub_f32_e32 v37, v48, v37
	v_fma_f32 v49, v49, 2.0, -v53
	v_fma_f32 v57, v57, 2.0, -v41
	v_add_f32_e32 v43, v53, v40
	v_sub_f32_e32 v78, v50, v38
	v_sub_f32_e32 v56, v51, v56
	;; [unrolled: 1-line block ×3, first 2 shown]
	v_fma_f32 v46, v46, v20, -v54
	v_fmac_f32_e32 v55, v47, v20
	v_fma_f32 v32, v32, v22, -v58
	v_fmac_f32_e32 v59, v33, v22
	;; [unrolled: 2-line block ×3, first 2 shown]
	v_fma_f32 v48, v48, 2.0, -v37
	v_fma_f32 v36, v36, 2.0, -v40
	v_sub_f32_e32 v42, v37, v41
	v_sub_f32_e32 v79, v76, v39
	;; [unrolled: 1-line block ×3, first 2 shown]
	v_fma_f32 v39, v53, 2.0, -v43
	v_fma_f32 v34, v50, 2.0, -v78
	;; [unrolled: 1-line block ×4, first 2 shown]
	v_sub_f32_e32 v50, v78, v70
	v_sub_f32_e32 v32, v44, v32
	;; [unrolled: 1-line block ×6, first 2 shown]
	v_fma_f32 v38, v37, 2.0, -v42
	v_fma_f32 v47, v76, 2.0, -v79
	;; [unrolled: 1-line block ×3, first 2 shown]
	v_sub_f32_e32 v49, v35, v52
	v_fma_f32 v52, v44, 2.0, -v32
	v_fma_f32 v75, v45, 2.0, -v70
	;; [unrolled: 1-line block ×4, first 2 shown]
	v_add_f32_e32 v51, v56, v79
	v_fma_f32 v36, v48, 2.0, -v40
	v_sub_f32_e32 v48, v34, v47
	v_sub_f32_e32 v46, v32, v53
	v_add_f32_e32 v47, v70, v33
	v_sub_f32_e32 v44, v52, v44
	v_sub_f32_e32 v45, v75, v45
	v_fma_f32 v58, v78, 2.0, -v50
	v_fma_f32 v59, v56, 2.0, -v51
	;; [unrolled: 1-line block ×8, first 2 shown]
	ds_write2_b64 v71, v[36:37], v[56:57] offset1:52
	ds_write2_b64 v71, v[38:39], v[58:59] offset0:143 offset1:195
	ds_write2_b64 v69, v[40:41], v[48:49] offset0:30 offset1:82
	ds_write2_b64 v69, v[42:43], v[50:51] offset0:173 offset1:225
	s_and_saveexec_b32 s1, s0
	s_cbranch_execz .LBB0_11
; %bb.10:
	v_add_nc_u32_e32 v32, 0xc00, v71
	ds_write2_b64 v71, v[52:53], v[54:55] offset0:104 offset1:247
	ds_write2_b64 v32, v[44:45], v[46:47] offset0:6 offset1:149
.LBB0_11:
	s_or_b32 exec_lo, exec_lo, s1
	s_waitcnt lgkmcnt(0)
	s_barrier
	buffer_gl0_inv
	s_and_saveexec_b32 s2, vcc_lo
	s_cbranch_execz .LBB0_13
; %bb.12:
	v_add_co_u32 v77, s1, s14, v71
	v_add_co_ci_u32_e64 v78, null, s15, 0, s1
	v_add_nc_u32_e32 v118, 0x400, v71
	v_add_co_u32 v32, s1, 0x1000, v77
	v_add_co_ci_u32_e64 v33, s1, 0, v78, s1
	v_add_co_u32 v34, s1, 0x11e0, v77
	v_add_co_ci_u32_e64 v35, s1, 0, v78, s1
	global_load_dwordx2 v[32:33], v[32:33], off offset:480
	v_add_co_u32 v75, s1, 0x1800, v77
	global_load_dwordx2 v[69:70], v[34:35], off offset:352
	v_add_co_ci_u32_e64 v76, s1, 0, v78, s1
	s_clause 0x6
	global_load_dwordx2 v[95:96], v[34:35], off offset:704
	global_load_dwordx2 v[97:98], v[34:35], off offset:1056
	global_load_dwordx2 v[99:100], v[34:35], off offset:1408
	global_load_dwordx2 v[101:102], v[75:76], off offset:544
	global_load_dwordx2 v[103:104], v[75:76], off offset:896
	global_load_dwordx2 v[105:106], v[34:35], off offset:1760
	global_load_dwordx2 v[107:108], v[75:76], off offset:1248
	v_add_co_u32 v34, s1, 0x2000, v77
	v_add_co_ci_u32_e64 v35, s1, 0, v78, s1
	s_clause 0x3
	global_load_dwordx2 v[109:110], v[75:76], off offset:1600
	global_load_dwordx2 v[111:112], v[75:76], off offset:1952
	;; [unrolled: 1-line block ×4, first 2 shown]
	ds_read_b64 v[34:35], v71
	v_add_nc_u32_e32 v119, 0x800, v71
	v_add_nc_u32_e32 v120, 0xc00, v71
	s_waitcnt vmcnt(12) lgkmcnt(0)
	v_mul_f32_e32 v75, v35, v33
	v_mul_f32_e32 v76, v34, v33
	v_fma_f32 v75, v34, v32, -v75
	v_fmac_f32_e32 v76, v35, v32
	ds_write_b64 v71, v[75:76]
	ds_read2_b64 v[32:35], v71 offset0:44 offset1:88
	ds_read2_b64 v[75:78], v71 offset0:132 offset1:176
	;; [unrolled: 1-line block ×6, first 2 shown]
	s_waitcnt vmcnt(11) lgkmcnt(5)
	v_mul_f32_e32 v121, v33, v70
	v_mul_f32_e32 v117, v32, v70
	s_waitcnt vmcnt(10)
	v_mul_f32_e32 v122, v35, v96
	v_mul_f32_e32 v70, v34, v96
	s_waitcnt vmcnt(9) lgkmcnt(4)
	v_mul_f32_e32 v123, v76, v98
	v_mul_f32_e32 v96, v75, v98
	s_waitcnt vmcnt(8)
	v_mul_f32_e32 v124, v78, v100
	v_mul_f32_e32 v98, v77, v100
	s_waitcnt vmcnt(5) lgkmcnt(3)
	v_mul_f32_e32 v125, v80, v106
	v_mul_f32_e32 v100, v79, v106
	v_mul_f32_e32 v126, v82, v102
	v_mul_f32_e32 v106, v81, v102
	s_waitcnt lgkmcnt(2)
	v_mul_f32_e32 v127, v84, v104
	v_mul_f32_e32 v102, v83, v104
	s_waitcnt vmcnt(4)
	v_mul_f32_e32 v128, v86, v108
	v_mul_f32_e32 v104, v85, v108
	s_waitcnt vmcnt(3) lgkmcnt(1)
	v_mul_f32_e32 v129, v88, v110
	v_mul_f32_e32 v108, v87, v110
	s_waitcnt vmcnt(2)
	v_mul_f32_e32 v130, v90, v112
	v_mul_f32_e32 v110, v89, v112
	s_waitcnt vmcnt(1) lgkmcnt(0)
	v_mul_f32_e32 v131, v92, v114
	v_mul_f32_e32 v112, v91, v114
	s_waitcnt vmcnt(0)
	v_mul_f32_e32 v132, v94, v116
	v_mul_f32_e32 v114, v93, v116
	v_fma_f32 v116, v32, v69, -v121
	v_fmac_f32_e32 v117, v33, v69
	v_fma_f32 v69, v34, v95, -v122
	v_fmac_f32_e32 v70, v35, v95
	;; [unrolled: 2-line block ×12, first 2 shown]
	ds_write2_b64 v71, v[116:117], v[69:70] offset0:44 offset1:88
	ds_write2_b64 v71, v[95:96], v[97:98] offset0:132 offset1:176
	;; [unrolled: 1-line block ×6, first 2 shown]
.LBB0_13:
	s_or_b32 exec_lo, exec_lo, s2
	s_waitcnt lgkmcnt(0)
	s_barrier
	buffer_gl0_inv
	s_and_saveexec_b32 s1, vcc_lo
	s_cbranch_execz .LBB0_15
; %bb.14:
	v_add_nc_u32_e32 v32, 0x800, v71
	ds_read2_b64 v[36:39], v71 offset1:44
	ds_read2_b64 v[40:43], v71 offset0:88 offset1:132
	ds_read2_b64 v[56:59], v71 offset0:176 offset1:220
	ds_read2_b64 v[48:51], v32 offset0:8 offset1:52
	ds_read2_b64 v[52:55], v32 offset0:96 offset1:140
	ds_read2_b64 v[44:47], v32 offset0:184 offset1:228
	ds_read_b64 v[61:62], v71 offset:4224
.LBB0_15:
	s_or_b32 exec_lo, exec_lo, s1
	s_waitcnt lgkmcnt(0)
	v_sub_f32_e32 v87, v39, v62
	v_add_f32_e32 v95, v62, v39
	v_add_f32_e32 v75, v61, v38
	v_sub_f32_e32 v78, v38, v61
	v_sub_f32_e32 v88, v41, v47
	v_mul_f32_e32 v98, 0xbf52af12, v87
	v_mul_f32_e32 v102, 0x3f116cb1, v95
	v_add_f32_e32 v96, v47, v41
	v_add_f32_e32 v76, v46, v40
	v_sub_f32_e32 v77, v40, v46
	v_fma_f32 v32, 0x3f116cb1, v75, -v98
	v_fmamk_f32 v33, v78, 0xbf52af12, v102
	v_mul_f32_e32 v100, 0xbf6f5d39, v88
	v_mul_f32_e32 v104, 0xbeb58ec6, v96
	v_sub_f32_e32 v89, v43, v45
	v_add_f32_e32 v97, v45, v43
	v_add_f32_e32 v32, v36, v32
	v_add_f32_e32 v33, v37, v33
	v_fma_f32 v34, 0xbeb58ec6, v76, -v100
	v_fmamk_f32 v35, v77, 0xbf6f5d39, v104
	v_add_f32_e32 v79, v44, v42
	v_mul_f32_e32 v101, 0xbe750f2a, v89
	v_sub_f32_e32 v80, v42, v44
	v_mul_f32_e32 v105, 0xbf788fa5, v97
	v_sub_f32_e32 v91, v57, v55
	v_add_f32_e32 v99, v55, v57
	v_add_f32_e32 v32, v34, v32
	;; [unrolled: 1-line block ×3, first 2 shown]
	v_fma_f32 v34, 0xbf788fa5, v79, -v101
	v_fmamk_f32 v35, v80, 0xbe750f2a, v105
	v_add_f32_e32 v81, v54, v56
	v_sub_f32_e32 v82, v56, v54
	v_mul_f32_e32 v103, 0x3f29c268, v91
	v_mul_f32_e32 v107, 0xbf3f9e67, v99
	v_sub_f32_e32 v90, v59, v53
	v_add_f32_e32 v94, v53, v59
	v_add_f32_e32 v32, v34, v32
	;; [unrolled: 1-line block ×3, first 2 shown]
	v_fma_f32 v34, 0xbf3f9e67, v81, -v103
	v_fmamk_f32 v35, v82, 0x3f29c268, v107
	v_add_f32_e32 v83, v52, v58
	v_mul_f32_e32 v106, 0x3f7e222b, v90
	v_sub_f32_e32 v84, v58, v52
	v_mul_f32_e32 v109, 0x3df6dbef, v94
	v_sub_f32_e32 v92, v49, v51
	v_add_f32_e32 v93, v51, v49
	v_add_f32_e32 v32, v34, v32
	;; [unrolled: 1-line block ×3, first 2 shown]
	v_fma_f32 v34, 0x3df6dbef, v83, -v106
	v_fmamk_f32 v35, v84, 0x3f7e222b, v109
	v_add_f32_e32 v85, v50, v48
	v_sub_f32_e32 v86, v48, v50
	v_mul_f32_e32 v108, 0x3eedf032, v92
	v_mul_f32_e32 v110, 0x3f62ad3f, v93
	v_add_f32_e32 v32, v34, v32
	v_add_f32_e32 v33, v35, v33
	v_fma_f32 v34, 0x3f62ad3f, v85, -v108
	v_fmamk_f32 v35, v86, 0x3eedf032, v110
	s_barrier
	buffer_gl0_inv
	v_add_f32_e32 v34, v34, v32
	v_add_f32_e32 v35, v35, v33
	s_and_saveexec_b32 s1, vcc_lo
	s_cbranch_execz .LBB0_17
; %bb.16:
	v_mul_f32_e32 v117, 0xbf7e222b, v78
	v_mul_f32_e32 v118, 0xbe750f2a, v77
	;; [unrolled: 1-line block ×5, first 2 shown]
	v_fmamk_f32 v32, v95, 0x3df6dbef, v117
	v_fmamk_f32 v33, v96, 0xbf788fa5, v118
	v_mul_f32_e32 v133, 0xbe750f2a, v88
	v_fma_f32 v69, 0x3df6dbef, v75, -v130
	v_mul_f32_e32 v134, 0xbf52af12, v84
	v_add_f32_e32 v32, v37, v32
	v_mul_f32_e32 v135, 0x3f6f5d39, v89
	v_fma_f32 v70, 0xbf788fa5, v76, -v133
	v_add_f32_e32 v69, v36, v69
	v_mul_f32_e32 v137, 0x3eedf032, v91
	v_add_f32_e32 v32, v33, v32
	v_fmamk_f32 v33, v97, 0xbeb58ec6, v127
	v_mul_f32_e32 v138, 0xbf29c268, v86
	v_add_f32_e32 v69, v70, v69
	v_fma_f32 v70, 0xbeb58ec6, v79, -v135
	v_mul_f32_e32 v115, 0xbf6f5d39, v78
	v_add_f32_e32 v32, v33, v32
	v_fmamk_f32 v33, v99, 0x3f62ad3f, v131
	v_mul_f32_e32 v139, 0xbf52af12, v90
	v_mul_f32_e32 v116, 0x3f29c268, v77
	v_fmamk_f32 v111, v95, 0xbeb58ec6, v115
	v_mul_f32_e32 v140, 0x3eedf032, v80
	v_add_f32_e32 v32, v33, v32
	v_fmamk_f32 v33, v94, 0x3f116cb1, v134
	v_fma_f32 v112, 0x3f116cb1, v83, -v139
	v_mul_f32_e32 v142, 0xbf6f5d39, v87
	v_mul_f32_e32 v141, 0xbf29c268, v92
	;; [unrolled: 1-line block ×3, first 2 shown]
	v_add_f32_e32 v32, v33, v32
	v_add_f32_e32 v33, v70, v69
	v_fma_f32 v69, 0x3f62ad3f, v81, -v137
	v_fmamk_f32 v70, v93, 0xbf3f9e67, v138
	v_mul_f32_e32 v144, 0x3f29c268, v88
	v_mul_f32_e32 v145, 0x3e750f2a, v84
	;; [unrolled: 1-line block ×3, first 2 shown]
	v_add_f32_e32 v69, v69, v33
	v_add_f32_e32 v33, v70, v32
	;; [unrolled: 1-line block ×3, first 2 shown]
	v_fmamk_f32 v70, v96, 0xbf3f9e67, v116
	v_fma_f32 v111, 0xbf3f9e67, v85, -v141
	v_add_f32_e32 v69, v112, v69
	v_fma_f32 v112, 0xbeb58ec6, v75, -v142
	v_fma_f32 v113, 0xbf3f9e67, v76, -v144
	v_add_f32_e32 v32, v70, v32
	v_fmamk_f32 v70, v97, 0x3f62ad3f, v140
	v_fmamk_f32 v114, v94, 0xbf788fa5, v145
	v_add_f32_e32 v112, v36, v112
	v_mul_f32_e32 v147, 0xbf7e222b, v91
	v_mul_f32_e32 v148, 0x3f52af12, v86
	v_add_f32_e32 v32, v70, v32
	v_fmamk_f32 v70, v99, 0x3df6dbef, v143
	v_mul_f32_e32 v149, 0x3e750f2a, v90
	v_mul_f32_e32 v150, 0x3f7e222b, v77
	v_mul_f32_e32 v151, 0xbf52af12, v80
	v_mul_f32_e32 v153, 0xbf29c268, v87
	v_add_f32_e32 v70, v70, v32
	v_add_f32_e32 v32, v111, v69
	;; [unrolled: 1-line block ×3, first 2 shown]
	v_fma_f32 v111, 0x3f62ad3f, v79, -v146
	v_mul_f32_e32 v113, 0xbf29c268, v78
	v_add_f32_e32 v70, v114, v70
	v_fmamk_f32 v112, v93, 0x3f116cb1, v148
	v_mul_f32_e32 v152, 0x3f52af12, v92
	v_add_f32_e32 v69, v111, v69
	v_fma_f32 v111, 0x3df6dbef, v81, -v147
	v_fmamk_f32 v114, v95, 0xbf3f9e67, v113
	v_add_f32_e32 v70, v112, v70
	v_mul_f32_e32 v154, 0x3e750f2a, v82
	v_fma_f32 v155, 0xbf3f9e67, v75, -v153
	v_add_f32_e32 v69, v111, v69
	v_fma_f32 v111, 0xbf788fa5, v83, -v149
	v_add_f32_e32 v112, v37, v114
	v_fmamk_f32 v114, v96, 0x3df6dbef, v150
	v_mul_f32_e32 v156, 0x3f7e222b, v88
	v_mul_f32_e32 v157, 0x3eedf032, v84
	v_add_f32_e32 v69, v111, v69
	v_add_f32_e32 v155, v36, v155
	;; [unrolled: 1-line block ×3, first 2 shown]
	v_fmamk_f32 v112, v97, 0x3f116cb1, v151
	v_fma_f32 v114, 0x3f116cb1, v85, -v152
	v_fma_f32 v158, 0x3df6dbef, v76, -v156
	v_mul_f32_e32 v159, 0xbf52af12, v89
	v_mul_f32_e32 v120, 0xbf52af12, v78
	v_add_f32_e32 v111, v112, v111
	v_fmamk_f32 v112, v99, 0xbf788fa5, v154
	v_add_f32_e32 v69, v114, v69
	v_add_f32_e32 v114, v158, v155
	v_fma_f32 v155, 0x3f116cb1, v79, -v159
	v_mul_f32_e32 v158, 0x3e750f2a, v91
	v_add_f32_e32 v111, v112, v111
	v_fmamk_f32 v112, v94, 0x3f62ad3f, v157
	v_mul_f32_e32 v160, 0xbf6f5d39, v86
	v_mul_f32_e32 v161, 0xbf788fa5, v95
	v_fmac_f32_e32 v130, 0x3df6dbef, v75
	v_mul_f32_e32 v122, 0xbf6f5d39, v77
	v_add_f32_e32 v111, v112, v111
	v_add_f32_e32 v112, v155, v114
	v_fma_f32 v114, 0xbf788fa5, v81, -v158
	v_mul_f32_e32 v155, 0x3eedf032, v90
	v_fmamk_f32 v162, v93, 0xbeb58ec6, v160
	v_fmamk_f32 v163, v78, 0x3e750f2a, v161
	v_mul_f32_e32 v164, 0x3f62ad3f, v96
	v_add_f32_e32 v130, v36, v130
	v_fmac_f32_e32 v133, 0xbf788fa5, v76
	v_sub_f32_e32 v102, v102, v120
	v_mul_f32_e32 v119, 0x3f116cb1, v75
	v_mul_f32_e32 v124, 0xbe750f2a, v80
	v_add_f32_e32 v114, v114, v112
	v_fma_f32 v165, 0x3f62ad3f, v83, -v155
	v_add_f32_e32 v112, v162, v111
	v_add_f32_e32 v111, v37, v163
	v_fmamk_f32 v162, v77, 0xbeedf032, v164
	v_mul_f32_e32 v163, 0xbf3f9e67, v97
	v_mul_f32_e32 v166, 0xbe750f2a, v87
	v_add_f32_e32 v130, v133, v130
	v_fmac_f32_e32 v135, 0xbeb58ec6, v79
	v_add_f32_e32 v102, v37, v102
	v_sub_f32_e32 v104, v104, v122
	v_mul_f32_e32 v121, 0xbeb58ec6, v76
	v_mul_f32_e32 v126, 0x3f29c268, v82
	v_add_f32_e32 v114, v165, v114
	v_mul_f32_e32 v165, 0xbf6f5d39, v92
	v_add_f32_e32 v111, v162, v111
	v_fmamk_f32 v162, v80, 0x3f29c268, v163
	v_mul_f32_e32 v167, 0x3f116cb1, v99
	v_fmamk_f32 v169, v75, 0xbf788fa5, v166
	v_mul_f32_e32 v170, 0x3eedf032, v88
	v_add_f32_e32 v130, v135, v130
	v_fmac_f32_e32 v137, 0x3f62ad3f, v81
	v_add_f32_e32 v98, v119, v98
	v_add_f32_e32 v104, v104, v102
	v_sub_f32_e32 v105, v105, v124
	v_mul_f32_e32 v123, 0xbf788fa5, v79
	v_fma_f32 v168, 0xbeb58ec6, v85, -v165
	v_add_f32_e32 v111, v162, v111
	v_fmamk_f32 v162, v82, 0xbf52af12, v167
	v_mul_f32_e32 v171, 0xbeb58ec6, v94
	v_add_f32_e32 v169, v36, v169
	v_fmamk_f32 v172, v76, 0x3f62ad3f, v170
	v_mul_f32_e32 v173, 0xbf29c268, v89
	v_fmac_f32_e32 v142, 0xbeb58ec6, v75
	v_add_f32_e32 v119, v137, v130
	v_fmac_f32_e32 v139, 0x3f116cb1, v83
	v_add_f32_e32 v98, v36, v98
	v_add_f32_e32 v100, v121, v100
	;; [unrolled: 1-line block ×3, first 2 shown]
	v_sub_f32_e32 v105, v107, v126
	v_mul_f32_e32 v125, 0xbf3f9e67, v81
	v_add_f32_e32 v162, v162, v111
	v_fmamk_f32 v174, v84, 0x3f6f5d39, v171
	v_add_f32_e32 v111, v168, v114
	v_add_f32_e32 v114, v172, v169
	v_fmamk_f32 v168, v79, 0xbf3f9e67, v173
	v_mul_f32_e32 v169, 0x3f52af12, v91
	v_fma_f32 v113, 0xbf3f9e67, v95, -v113
	v_fma_f32 v115, 0xbeb58ec6, v95, -v115
	v_add_f32_e32 v142, v36, v142
	v_fmac_f32_e32 v144, 0xbf3f9e67, v76
	v_fma_f32 v117, 0x3df6dbef, v95, -v117
	v_add_f32_e32 v107, v139, v119
	v_add_f32_e32 v98, v100, v98
	v_add_f32_e32 v100, v123, v101
	v_fmac_f32_e32 v141, 0xbf3f9e67, v85
	v_add_f32_e32 v104, v105, v104
	v_mul_f32_e32 v105, 0x3f62ad3f, v95
	v_mul_f32_e32 v128, 0x3df6dbef, v83
	;; [unrolled: 1-line block ×3, first 2 shown]
	v_add_f32_e32 v162, v174, v162
	v_mul_f32_e32 v172, 0x3df6dbef, v93
	v_add_f32_e32 v114, v168, v114
	v_fmamk_f32 v168, v81, 0x3f116cb1, v169
	v_mul_f32_e32 v174, 0xbf6f5d39, v90
	v_add_f32_e32 v113, v37, v113
	v_fma_f32 v150, 0x3df6dbef, v96, -v150
	v_add_f32_e32 v115, v37, v115
	v_fma_f32 v116, 0xbf3f9e67, v96, -v116
	v_add_f32_e32 v142, v144, v142
	v_add_f32_e32 v117, v37, v117
	v_fma_f32 v144, 0xbf788fa5, v96, -v118
	v_add_f32_e32 v98, v100, v98
	v_add_f32_e32 v100, v125, v103
	;; [unrolled: 1-line block ×3, first 2 shown]
	v_fmamk_f32 v103, v78, 0x3eedf032, v105
	v_mul_f32_e32 v107, 0x3f116cb1, v96
	v_add_f32_e32 v39, v39, v37
	v_mul_f32_e32 v132, 0x3f62ad3f, v85
	v_mul_f32_e32 v136, 0x3eedf032, v86
	v_fmamk_f32 v175, v86, 0xbf7e222b, v172
	v_add_f32_e32 v168, v168, v114
	v_fmamk_f32 v176, v83, 0xbeb58ec6, v174
	v_mul_f32_e32 v177, 0x3f7e222b, v92
	v_add_f32_e32 v113, v150, v113
	v_fma_f32 v150, 0x3f116cb1, v97, -v151
	v_add_f32_e32 v115, v116, v115
	v_fma_f32 v140, 0x3f62ad3f, v97, -v140
	;; [unrolled: 2-line block ×3, first 2 shown]
	v_sub_f32_e32 v95, v109, v129
	v_add_f32_e32 v96, v100, v98
	v_add_f32_e32 v98, v128, v106
	;; [unrolled: 1-line block ×3, first 2 shown]
	v_fmamk_f32 v103, v77, 0x3f52af12, v107
	v_mul_f32_e32 v97, 0x3df6dbef, v97
	v_add_f32_e32 v39, v41, v39
	v_add_f32_e32 v38, v38, v36
	v_add_f32_e32 v114, v175, v162
	v_add_f32_e32 v151, v176, v168
	v_fmamk_f32 v162, v85, 0x3df6dbef, v177
	v_fma_f32 v154, 0xbf788fa5, v99, -v154
	v_add_f32_e32 v115, v140, v115
	v_fma_f32 v140, 0x3df6dbef, v99, -v143
	v_add_f32_e32 v127, v127, v117
	v_fma_f32 v131, 0x3f62ad3f, v99, -v131
	v_add_f32_e32 v95, v95, v104
	v_sub_f32_e32 v104, v110, v136
	v_add_f32_e32 v98, v98, v96
	v_add_f32_e32 v106, v132, v108
	;; [unrolled: 1-line block ×3, first 2 shown]
	v_fmamk_f32 v103, v80, 0x3f7e222b, v97
	v_mul_f32_e32 v99, 0xbeb58ec6, v99
	v_add_f32_e32 v39, v43, v39
	v_add_f32_e32 v38, v40, v38
	;; [unrolled: 1-line block ×4, first 2 shown]
	v_fma_f32 v151, 0x3f62ad3f, v94, -v157
	v_fma_f32 v145, 0xbf788fa5, v94, -v145
	v_add_f32_e32 v120, v131, v127
	v_fma_f32 v127, 0x3f116cb1, v94, -v134
	v_add_f32_e32 v96, v104, v95
	v_add_f32_e32 v95, v106, v98
	;; [unrolled: 1-line block ×3, first 2 shown]
	v_fmamk_f32 v100, v82, 0x3f6f5d39, v99
	v_mul_f32_e32 v94, 0xbf3f9e67, v94
	v_mul_f32_e32 v87, 0xbeedf032, v87
	v_add_f32_e32 v39, v57, v39
	v_add_f32_e32 v38, v42, v38
	;; [unrolled: 1-line block ×3, first 2 shown]
	v_fmamk_f32 v40, v84, 0x3f29c268, v94
	v_fmamk_f32 v43, v75, 0x3f62ad3f, v87
	v_mul_f32_e32 v88, 0xbf52af12, v88
	v_add_f32_e32 v39, v59, v39
	v_add_f32_e32 v38, v56, v38
	;; [unrolled: 1-line block ×4, first 2 shown]
	v_fmamk_f32 v42, v76, 0x3f116cb1, v88
	v_mul_f32_e32 v43, 0xbf7e222b, v89
	v_mul_f32_e32 v56, 0xbf788fa5, v93
	v_add_f32_e32 v39, v49, v39
	v_add_f32_e32 v38, v58, v38
	;; [unrolled: 1-line block ×3, first 2 shown]
	v_fmamk_f32 v42, v79, 0x3df6dbef, v43
	v_mul_f32_e32 v49, 0xbf6f5d39, v91
	v_fmamk_f32 v57, v86, 0x3e750f2a, v56
	v_add_f32_e32 v51, v51, v39
	v_add_f32_e32 v38, v48, v38
	;; [unrolled: 1-line block ×3, first 2 shown]
	v_fmamk_f32 v42, v81, 0xbeb58ec6, v49
	v_add_f32_e32 v39, v57, v40
	v_add_f32_e32 v40, v53, v51
	;; [unrolled: 1-line block ×3, first 2 shown]
	v_fmac_f32_e32 v161, 0xbe750f2a, v78
	v_fmac_f32_e32 v153, 0xbf3f9e67, v75
	v_add_f32_e32 v41, v42, v41
	v_mul_f32_e32 v42, 0xbf29c268, v90
	v_add_f32_e32 v40, v55, v40
	v_add_f32_e32 v38, v52, v38
	;; [unrolled: 1-line block ×3, first 2 shown]
	v_fmac_f32_e32 v164, 0x3eedf032, v77
	v_add_f32_e32 v153, v36, v153
	v_fmac_f32_e32 v156, 0x3df6dbef, v76
	v_fmamk_f32 v50, v83, 0xbf3f9e67, v42
	v_mul_f32_e32 v51, 0xbe750f2a, v92
	v_add_f32_e32 v40, v45, v40
	v_add_f32_e32 v38, v54, v38
	;; [unrolled: 1-line block ×3, first 2 shown]
	v_fmac_f32_e32 v163, 0xbf29c268, v80
	v_add_f32_e32 v150, v154, v150
	v_add_f32_e32 v153, v156, v153
	v_fmac_f32_e32 v159, 0x3f116cb1, v79
	v_add_f32_e32 v41, v50, v41
	v_fmamk_f32 v48, v85, 0xbf788fa5, v51
	v_add_f32_e32 v40, v47, v40
	v_add_f32_e32 v44, v44, v38
	;; [unrolled: 1-line block ×3, first 2 shown]
	v_fmac_f32_e32 v167, 0x3f52af12, v82
	v_fma_f32 v47, 0xbf788fa5, v75, -v166
	v_add_f32_e32 v150, v151, v150
	v_fma_f32 v151, 0xbeb58ec6, v93, -v160
	v_add_f32_e32 v153, v159, v153
	v_fmac_f32_e32 v158, 0xbf788fa5, v81
	v_add_f32_e32 v38, v48, v41
	v_add_f32_e32 v41, v62, v40
	;; [unrolled: 1-line block ×5, first 2 shown]
	v_fma_f32 v46, 0x3f62ad3f, v76, -v170
	v_fmac_f32_e32 v105, 0xbeedf032, v78
	v_fma_f32 v47, 0x3f62ad3f, v75, -v87
	v_add_f32_e32 v116, v151, v150
	v_add_f32_e32 v150, v158, v153
	v_fmac_f32_e32 v155, 0x3f62ad3f, v83
	v_add_f32_e32 v45, v46, v45
	v_fma_f32 v46, 0xbf3f9e67, v79, -v173
	v_add_f32_e32 v37, v37, v105
	v_fmac_f32_e32 v107, 0xbf52af12, v77
	v_add_f32_e32 v36, v36, v47
	v_fma_f32 v47, 0x3f116cb1, v76, -v88
	v_add_f32_e32 v143, v155, v150
	v_fmac_f32_e32 v165, 0xbeb58ec6, v85
	v_add_f32_e32 v140, v140, v115
	v_fmac_f32_e32 v146, 0x3f62ad3f, v79
	v_add_f32_e32 v45, v46, v45
	v_fma_f32 v46, 0x3f116cb1, v81, -v169
	v_add_f32_e32 v37, v107, v37
	v_fmac_f32_e32 v97, 0xbf7e222b, v80
	v_add_f32_e32 v36, v47, v36
	v_fma_f32 v43, 0x3df6dbef, v79, -v43
	v_add_f32_e32 v115, v165, v143
	v_add_f32_e32 v140, v145, v140
	v_fma_f32 v143, 0x3f116cb1, v93, -v148
	v_add_f32_e32 v142, v146, v142
	v_fmac_f32_e32 v147, 0x3df6dbef, v81
	v_add_f32_e32 v45, v46, v45
	v_fma_f32 v46, 0xbeb58ec6, v83, -v174
	v_add_f32_e32 v37, v97, v37
	v_fmac_f32_e32 v99, 0xbf6f5d39, v82
	v_add_f32_e32 v36, v43, v36
	v_fma_f32 v43, 0xbeb58ec6, v81, -v49
	v_add_f32_e32 v118, v143, v140
	v_add_f32_e32 v140, v147, v142
	v_fmac_f32_e32 v149, 0xbf788fa5, v83
	v_fmac_f32_e32 v171, 0xbf6f5d39, v84
	v_add_f32_e32 v45, v46, v45
	v_add_f32_e32 v37, v99, v37
	v_fmac_f32_e32 v94, 0xbf29c268, v84
	v_add_f32_e32 v36, v43, v36
	v_fma_f32 v42, 0xbf3f9e67, v83, -v42
	v_mov_b32_e32 v46, 3
	v_add_f32_e32 v120, v127, v120
	v_fma_f32 v122, 0xbf3f9e67, v93, -v138
	v_add_f32_e32 v140, v149, v140
	v_fmac_f32_e32 v152, 0x3f116cb1, v85
	v_add_f32_e32 v44, v171, v44
	v_fmac_f32_e32 v172, 0x3f7e222b, v86
	v_fma_f32 v43, 0x3df6dbef, v85, -v177
	v_add_f32_e32 v40, v61, v40
	v_add_f32_e32 v47, v94, v37
	v_fmac_f32_e32 v56, 0xbe750f2a, v86
	v_add_f32_e32 v42, v42, v36
	v_fma_f32 v48, 0xbf788fa5, v85, -v51
	v_lshlrev_b32_sdwa v46, v46, v73 dst_sel:DWORD dst_unused:UNUSED_PAD src0_sel:DWORD src1_sel:WORD_0
	v_add_f32_e32 v102, v122, v120
	v_add_f32_e32 v117, v152, v140
	;; [unrolled: 1-line block ×6, first 2 shown]
	ds_write2_b64 v46, v[40:41], v[38:39] offset1:1
	ds_write2_b64 v46, v[95:96], v[101:102] offset0:2 offset1:3
	ds_write2_b64 v46, v[117:118], v[115:116] offset0:4 offset1:5
	;; [unrolled: 1-line block ×5, first 2 shown]
	ds_write_b64 v46, v[42:43] offset:96
.LBB0_17:
	s_or_b32 exec_lo, exec_lo, s1
	s_waitcnt lgkmcnt(0)
	s_barrier
	buffer_gl0_inv
	ds_read2_b64 v[37:40], v71 offset1:52
	ds_read2_b64 v[41:44], v71 offset0:104 offset1:156
	v_add_nc_u32_e32 v32, 0x400, v71
	v_add_nc_u32_e32 v36, 0x800, v71
	ds_read2_b64 v[45:48], v32 offset0:80 offset1:132
	ds_read2_b64 v[49:52], v36 offset0:56 offset1:108
	ds_read_b64 v[32:33], v71 offset:4160
	ds_read2_b64 v[53:56], v36 offset0:160 offset1:212
	s_waitcnt lgkmcnt(0)
	s_barrier
	buffer_gl0_inv
	v_mul_f32_e32 v57, v17, v40
	v_mul_f32_e32 v17, v17, v39
	;; [unrolled: 1-line block ×6, first 2 shown]
	v_fmac_f32_e32 v57, v16, v39
	v_fma_f32 v16, v16, v40, -v17
	v_fmac_f32_e32 v59, v12, v43
	v_fma_f32 v12, v12, v44, -v13
	v_mul_f32_e32 v13, v15, v46
	v_mul_f32_e32 v15, v15, v45
	v_fmac_f32_e32 v58, v18, v41
	v_fma_f32 v17, v18, v42, -v19
	v_mul_f32_e32 v18, v5, v48
	v_mul_f32_e32 v5, v5, v47
	v_fmac_f32_e32 v13, v14, v45
	v_fma_f32 v14, v14, v46, -v15
	v_add_f32_e32 v15, v37, v57
	v_add_f32_e32 v39, v38, v16
	v_mul_f32_e32 v19, v7, v50
	v_fmac_f32_e32 v18, v4, v47
	v_fma_f32 v40, v4, v48, -v5
	v_mul_f32_e32 v4, v7, v49
	v_add_f32_e32 v5, v15, v58
	v_add_f32_e32 v7, v39, v17
	v_fmac_f32_e32 v19, v6, v49
	v_mul_f32_e32 v15, v1, v52
	v_fma_f32 v6, v6, v50, -v4
	v_add_f32_e32 v4, v5, v59
	v_add_f32_e32 v5, v7, v12
	v_mul_f32_e32 v1, v1, v51
	v_fmac_f32_e32 v15, v0, v51
	v_mul_f32_e32 v7, v9, v56
	v_add_f32_e32 v4, v4, v13
	v_add_f32_e32 v5, v5, v14
	v_fma_f32 v0, v0, v52, -v1
	v_mul_f32_e32 v1, v3, v54
	v_mul_f32_e32 v3, v3, v53
	v_add_f32_e32 v4, v4, v18
	v_add_f32_e32 v5, v5, v40
	v_mul_f32_e32 v9, v9, v55
	v_fmac_f32_e32 v1, v2, v53
	v_fma_f32 v2, v2, v54, -v3
	v_mul_f32_e32 v3, v11, v32
	v_add_f32_e32 v5, v5, v6
	v_fmac_f32_e32 v7, v8, v55
	v_add_f32_e32 v4, v4, v19
	v_mul_f32_e32 v11, v11, v33
	v_fma_f32 v3, v10, v33, -v3
	v_add_f32_e32 v5, v5, v0
	v_fma_f32 v8, v8, v56, -v9
	v_add_f32_e32 v4, v4, v15
	v_fmac_f32_e32 v11, v10, v32
	v_sub_f32_e32 v9, v16, v3
	v_add_f32_e32 v5, v5, v2
	v_add_f32_e32 v16, v16, v3
	;; [unrolled: 1-line block ×4, first 2 shown]
	v_mul_f32_e32 v32, 0xbf0a6770, v9
	v_add_f32_e32 v5, v5, v8
	v_mul_f32_e32 v44, 0xbf7d64f0, v9
	v_mul_f32_e32 v49, 0xbf4178ce, v9
	v_sub_f32_e32 v54, v17, v8
	v_add_f32_e32 v4, v4, v7
	v_add_f32_e32 v5, v5, v3
	v_mul_f32_e32 v3, 0xbf68dda4, v9
	v_mul_f32_e32 v9, 0xbe903f40, v9
	v_sub_f32_e32 v33, v57, v11
	v_mul_f32_e32 v39, 0x3f575c64, v16
	v_fmamk_f32 v41, v10, 0x3f575c64, v32
	v_fma_f32 v32, 0x3f575c64, v10, -v32
	v_fmamk_f32 v42, v10, 0x3ed4b147, v3
	v_mul_f32_e32 v43, 0x3ed4b147, v16
	v_fma_f32 v3, 0x3ed4b147, v10, -v3
	v_mul_f32_e32 v46, 0xbe11bafb, v16
	v_fmamk_f32 v47, v10, 0xbe11bafb, v44
	v_fma_f32 v44, 0xbe11bafb, v10, -v44
	v_mul_f32_e32 v50, 0xbf27a4f4, v16
	v_fmamk_f32 v51, v10, 0xbf27a4f4, v49
	v_fma_f32 v49, 0xbf27a4f4, v10, -v49
	v_fmamk_f32 v53, v10, 0xbf75a155, v9
	v_mul_f32_e32 v16, 0xbf75a155, v16
	v_fma_f32 v9, 0xbf75a155, v10, -v9
	v_add_f32_e32 v8, v17, v8
	v_add_f32_e32 v10, v58, v7
	v_mul_f32_e32 v17, 0xbf68dda4, v54
	v_add_f32_e32 v4, v4, v11
	v_fmamk_f32 v11, v33, 0x3f0a6770, v39
	v_add_f32_e32 v41, v37, v41
	v_fmac_f32_e32 v39, 0xbf0a6770, v33
	v_fmamk_f32 v45, v33, 0x3f68dda4, v43
	v_fmac_f32_e32 v43, 0xbf68dda4, v33
	v_fmamk_f32 v48, v33, 0x3f7d64f0, v46
	;; [unrolled: 2-line block ×4, first 2 shown]
	v_fmac_f32_e32 v16, 0xbe903f40, v33
	v_sub_f32_e32 v7, v58, v7
	v_mul_f32_e32 v33, 0x3ed4b147, v8
	v_fmamk_f32 v56, v10, 0x3ed4b147, v17
	v_add_f32_e32 v11, v38, v11
	v_add_f32_e32 v32, v37, v32
	;; [unrolled: 1-line block ×19, first 2 shown]
	v_fmamk_f32 v37, v7, 0x3f68dda4, v33
	v_mul_f32_e32 v38, 0xbf4178ce, v54
	v_add_f32_e32 v41, v56, v41
	v_fma_f32 v17, 0x3ed4b147, v10, -v17
	v_fmac_f32_e32 v33, 0xbf68dda4, v7
	v_mul_f32_e32 v56, 0xbf27a4f4, v8
	v_add_f32_e32 v11, v37, v11
	v_fmamk_f32 v37, v10, 0xbf27a4f4, v38
	v_add_f32_e32 v17, v17, v32
	v_add_f32_e32 v32, v33, v39
	v_mul_f32_e32 v33, 0x3e903f40, v54
	v_fmamk_f32 v39, v7, 0x3f4178ce, v56
	v_fma_f32 v38, 0xbf27a4f4, v10, -v38
	v_fmac_f32_e32 v56, 0xbf4178ce, v7
	v_mul_f32_e32 v57, 0xbf75a155, v8
	v_add_f32_e32 v37, v37, v42
	v_fmamk_f32 v42, v10, 0xbf75a155, v33
	v_add_f32_e32 v39, v39, v45
	v_add_f32_e32 v3, v38, v3
	;; [unrolled: 1-line block ×3, first 2 shown]
	v_fmamk_f32 v43, v7, 0xbe903f40, v57
	v_mul_f32_e32 v45, 0x3f7d64f0, v54
	v_add_f32_e32 v42, v42, v47
	v_fma_f32 v33, 0xbf75a155, v10, -v33
	v_mul_f32_e32 v47, 0xbe11bafb, v8
	v_add_f32_e32 v43, v43, v48
	v_fmamk_f32 v48, v10, 0xbe11bafb, v45
	v_mul_f32_e32 v54, 0x3f0a6770, v54
	v_fma_f32 v45, 0xbe11bafb, v10, -v45
	v_add_f32_e32 v33, v33, v44
	v_fmamk_f32 v44, v7, 0xbf7d64f0, v47
	v_add_f32_e32 v48, v48, v51
	v_fmac_f32_e32 v47, 0x3f7d64f0, v7
	v_fmamk_f32 v51, v10, 0x3f575c64, v54
	v_add_f32_e32 v45, v45, v49
	v_sub_f32_e32 v49, v12, v2
	v_add_f32_e32 v44, v44, v52
	v_mul_f32_e32 v8, 0x3f575c64, v8
	v_add_f32_e32 v47, v47, v50
	v_add_f32_e32 v50, v51, v53
	;; [unrolled: 1-line block ×3, first 2 shown]
	v_mul_f32_e32 v53, 0xbf7d64f0, v49
	v_add_f32_e32 v2, v12, v2
	v_fmac_f32_e32 v57, 0x3e903f40, v7
	v_fmamk_f32 v51, v7, 0xbf0a6770, v8
	v_fma_f32 v10, 0x3f575c64, v10, -v54
	v_fmac_f32_e32 v8, 0x3f0a6770, v7
	v_sub_f32_e32 v1, v59, v1
	v_fmamk_f32 v7, v52, 0xbe11bafb, v53
	v_mul_f32_e32 v12, 0xbe11bafb, v2
	v_add_f32_e32 v9, v10, v9
	v_add_f32_e32 v8, v8, v16
	v_mul_f32_e32 v16, 0x3e903f40, v49
	v_add_f32_e32 v7, v7, v41
	v_fmamk_f32 v10, v1, 0x3f7d64f0, v12
	v_fma_f32 v41, 0xbe11bafb, v52, -v53
	v_fmac_f32_e32 v12, 0xbf7d64f0, v1
	v_mul_f32_e32 v53, 0xbf75a155, v2
	v_mul_f32_e32 v54, 0x3f575c64, v2
	v_add_f32_e32 v10, v10, v11
	v_fmamk_f32 v11, v52, 0xbf75a155, v16
	v_add_f32_e32 v17, v41, v17
	v_add_f32_e32 v12, v12, v32
	v_fmamk_f32 v32, v1, 0xbe903f40, v53
	v_mul_f32_e32 v41, 0x3f68dda4, v49
	v_add_f32_e32 v11, v11, v37
	v_fma_f32 v16, 0xbf75a155, v52, -v16
	v_fmac_f32_e32 v53, 0x3e903f40, v1
	v_add_f32_e32 v32, v32, v39
	v_fmamk_f32 v37, v52, 0x3ed4b147, v41
	v_mul_f32_e32 v39, 0x3ed4b147, v2
	v_add_f32_e32 v3, v16, v3
	v_add_f32_e32 v16, v53, v38
	v_mul_f32_e32 v38, 0xbf0a6770, v49
	v_add_f32_e32 v37, v37, v42
	v_fmamk_f32 v42, v1, 0xbf68dda4, v39
	v_add_f32_e32 v46, v57, v46
	v_fmac_f32_e32 v39, 0x3f68dda4, v1
	v_fmamk_f32 v53, v52, 0x3f575c64, v38
	v_fma_f32 v38, 0x3f575c64, v52, -v38
	v_add_f32_e32 v42, v42, v43
	v_fmamk_f32 v43, v1, 0x3f0a6770, v54
	v_fmac_f32_e32 v54, 0xbf0a6770, v1
	v_fma_f32 v41, 0x3ed4b147, v52, -v41
	v_add_f32_e32 v39, v39, v46
	v_mul_f32_e32 v46, 0xbf4178ce, v49
	v_mul_f32_e32 v2, 0xbf27a4f4, v2
	v_add_f32_e32 v38, v38, v45
	v_add_f32_e32 v45, v54, v47
	v_sub_f32_e32 v47, v14, v0
	v_add_f32_e32 v0, v14, v0
	v_add_f32_e32 v33, v41, v33
	;; [unrolled: 1-line block ×4, first 2 shown]
	v_fmamk_f32 v44, v52, 0xbf27a4f4, v46
	v_fmamk_f32 v48, v1, 0x3f4178ce, v2
	v_add_f32_e32 v49, v13, v15
	v_mul_f32_e32 v14, 0xbf4178ce, v47
	v_fma_f32 v46, 0xbf27a4f4, v52, -v46
	v_fmac_f32_e32 v2, 0xbf4178ce, v1
	v_sub_f32_e32 v1, v13, v15
	v_mul_f32_e32 v13, 0xbf27a4f4, v0
	v_fmamk_f32 v15, v49, 0xbf27a4f4, v14
	v_add_f32_e32 v9, v46, v9
	v_add_f32_e32 v2, v2, v8
	v_mul_f32_e32 v8, 0x3f7d64f0, v47
	v_fmamk_f32 v46, v1, 0x3f4178ce, v13
	v_fma_f32 v14, 0xbf27a4f4, v49, -v14
	v_add_f32_e32 v7, v15, v7
	v_fmac_f32_e32 v13, 0xbf4178ce, v1
	v_fmamk_f32 v15, v49, 0xbe11bafb, v8
	v_add_f32_e32 v10, v46, v10
	v_mul_f32_e32 v46, 0xbe11bafb, v0
	v_add_f32_e32 v14, v14, v17
	v_fma_f32 v8, 0xbe11bafb, v49, -v8
	v_mul_f32_e32 v17, 0x3f575c64, v0
	v_add_f32_e32 v12, v13, v12
	v_add_f32_e32 v11, v15, v11
	v_mul_f32_e32 v13, 0xbf0a6770, v47
	v_fmamk_f32 v15, v1, 0xbf7d64f0, v46
	v_add_f32_e32 v3, v8, v3
	v_fmamk_f32 v8, v1, 0x3f0a6770, v17
	v_add_f32_e32 v44, v44, v50
	v_fmac_f32_e32 v46, 0x3f7d64f0, v1
	v_fmamk_f32 v50, v49, 0x3f575c64, v13
	v_add_f32_e32 v15, v15, v32
	v_mul_f32_e32 v32, 0xbe903f40, v47
	v_fma_f32 v13, 0x3f575c64, v49, -v13
	v_fmac_f32_e32 v17, 0xbf0a6770, v1
	v_add_f32_e32 v42, v8, v42
	v_mul_f32_e32 v8, 0xbf75a155, v0
	v_add_f32_e32 v16, v46, v16
	v_fmamk_f32 v46, v49, 0xbf75a155, v32
	v_add_f32_e32 v13, v13, v33
	v_add_f32_e32 v17, v17, v39
	v_mul_f32_e32 v33, 0x3f68dda4, v47
	v_fmamk_f32 v39, v1, 0x3e903f40, v8
	v_fmac_f32_e32 v8, 0xbe903f40, v1
	v_add_f32_e32 v51, v51, v55
	v_add_f32_e32 v41, v46, v41
	v_fma_f32 v32, 0xbf75a155, v49, -v32
	v_fmamk_f32 v46, v49, 0x3ed4b147, v33
	v_add_f32_e32 v39, v39, v43
	v_mul_f32_e32 v0, 0x3ed4b147, v0
	v_add_f32_e32 v43, v8, v45
	v_sub_f32_e32 v45, v40, v6
	v_add_f32_e32 v40, v40, v6
	v_add_f32_e32 v48, v48, v51
	;; [unrolled: 1-line block ×4, first 2 shown]
	v_fmamk_f32 v8, v1, 0xbf68dda4, v0
	v_fma_f32 v32, 0x3ed4b147, v49, -v33
	v_add_f32_e32 v46, v18, v19
	v_mul_f32_e32 v33, 0xbe903f40, v45
	v_fmac_f32_e32 v0, 0x3f68dda4, v1
	v_sub_f32_e32 v18, v18, v19
	v_mul_f32_e32 v1, 0xbf75a155, v40
	v_add_f32_e32 v19, v8, v48
	v_fmamk_f32 v6, v46, 0xbf75a155, v33
	v_add_f32_e32 v48, v0, v2
	v_mul_f32_e32 v2, 0x3f0a6770, v45
	v_fmamk_f32 v0, v18, 0x3e903f40, v1
	v_fma_f32 v8, 0xbf75a155, v46, -v33
	v_add_f32_e32 v6, v6, v7
	v_fmac_f32_e32 v1, 0xbe903f40, v18
	v_add_f32_e32 v47, v32, v9
	v_add_f32_e32 v7, v0, v10
	v_fmamk_f32 v0, v46, 0x3f575c64, v2
	v_mul_f32_e32 v10, 0x3f575c64, v40
	v_add_f32_e32 v32, v8, v14
	v_add_f32_e32 v33, v1, v12
	v_mul_f32_e32 v1, 0xbf4178ce, v45
	v_add_f32_e32 v8, v0, v11
	v_fmamk_f32 v0, v18, 0xbf0a6770, v10
	v_fma_f32 v2, 0x3f575c64, v46, -v2
	v_fmac_f32_e32 v10, 0x3f0a6770, v18
	v_mul_f32_e32 v12, 0xbf27a4f4, v40
	v_mul_f32_e32 v14, 0x3f68dda4, v45
	v_add_f32_e32 v37, v50, v37
	v_fmamk_f32 v11, v46, 0xbf27a4f4, v1
	v_add_f32_e32 v9, v0, v15
	v_add_f32_e32 v2, v2, v3
	;; [unrolled: 1-line block ×3, first 2 shown]
	v_fmamk_f32 v0, v18, 0x3f4178ce, v12
	v_fma_f32 v1, 0xbf27a4f4, v46, -v1
	v_fmac_f32_e32 v12, 0xbf4178ce, v18
	v_fmamk_f32 v16, v46, 0x3ed4b147, v14
	v_mul_f32_e32 v15, 0x3ed4b147, v40
	v_add_f32_e32 v10, v11, v37
	v_add_f32_e32 v11, v0, v42
	;; [unrolled: 1-line block ×4, first 2 shown]
	v_fma_f32 v14, 0x3ed4b147, v46, -v14
	v_add_f32_e32 v12, v16, v41
	v_mul_f32_e32 v16, 0xbf7d64f0, v45
	v_mul_f32_e32 v37, 0xbe11bafb, v40
	v_fmamk_f32 v13, v18, 0xbf68dda4, v15
	v_add_f32_e32 v14, v14, v38
	v_fmac_f32_e32 v15, 0x3f68dda4, v18
	v_fmamk_f32 v17, v46, 0xbe11bafb, v16
	v_fmamk_f32 v38, v18, 0x3f7d64f0, v37
	v_add_f32_e32 v13, v13, v39
	v_fma_f32 v39, 0xbe11bafb, v46, -v16
	v_fmac_f32_e32 v37, 0xbf7d64f0, v18
	v_add_f32_e32 v16, v17, v44
	v_add_f32_e32 v17, v38, v19
	;; [unrolled: 1-line block ×5, first 2 shown]
	ds_write2_b64 v74, v[4:5], v[6:7] offset1:13
	ds_write2_b64 v74, v[8:9], v[10:11] offset0:26 offset1:39
	ds_write2_b64 v74, v[12:13], v[16:17] offset0:52 offset1:65
	;; [unrolled: 1-line block ×4, first 2 shown]
	ds_write_b64 v74, v[32:33] offset:1040
	s_waitcnt lgkmcnt(0)
	s_barrier
	buffer_gl0_inv
	ds_read2_b64 v[4:7], v71 offset1:52
	ds_read2_b64 v[16:19], v71 offset0:143 offset1:195
	ds_read2_b64 v[8:11], v36 offset0:30 offset1:82
	;; [unrolled: 1-line block ×3, first 2 shown]
	s_and_saveexec_b32 s1, s0
	s_cbranch_execz .LBB0_19
; %bb.18:
	v_add_nc_u32_e32 v32, 0xc00, v71
	ds_read2_b64 v[0:3], v71 offset0:104 offset1:247
	ds_read2_b64 v[32:35], v32 offset0:6 offset1:149
.LBB0_19:
	s_or_b32 exec_lo, exec_lo, s1
	s_waitcnt lgkmcnt(2)
	v_mul_f32_e32 v37, v29, v17
	v_mul_f32_e32 v29, v29, v16
	s_waitcnt lgkmcnt(1)
	v_mul_f32_e32 v38, v31, v9
	v_mul_f32_e32 v31, v31, v8
	v_fmac_f32_e32 v37, v28, v16
	v_fma_f32 v16, v28, v17, -v29
	v_fmac_f32_e32 v38, v30, v8
	s_waitcnt lgkmcnt(0)
	v_mul_f32_e32 v8, v68, v13
	v_mul_f32_e32 v17, v68, v12
	;; [unrolled: 1-line block ×4, first 2 shown]
	v_fma_f32 v9, v30, v9, -v31
	v_fmac_f32_e32 v8, v67, v12
	v_mul_f32_e32 v12, v27, v11
	v_fma_f32 v13, v67, v13, -v17
	v_fma_f32 v17, v24, v19, -v25
	v_mul_f32_e32 v25, v66, v14
	v_sub_f32_e32 v19, v37, v8
	v_fmac_f32_e32 v12, v26, v10
	v_mul_f32_e32 v8, v27, v10
	v_sub_f32_e32 v10, v16, v13
	v_mul_f32_e32 v13, v66, v15
	v_fmac_f32_e32 v28, v24, v18
	v_sub_f32_e32 v18, v4, v38
	v_fma_f32 v11, v26, v11, -v8
	v_sub_f32_e32 v24, v5, v9
	v_fmac_f32_e32 v13, v65, v14
	v_fma_f32 v14, v65, v15, -v25
	v_sub_f32_e32 v25, v6, v12
	v_sub_f32_e32 v26, v7, v11
	v_fma_f32 v9, v4, 2.0, -v18
	v_sub_f32_e32 v15, v28, v13
	v_sub_f32_e32 v14, v17, v14
	v_fma_f32 v4, v37, 2.0, -v19
	v_fma_f32 v27, v5, 2.0, -v24
	;; [unrolled: 1-line block ×7, first 2 shown]
	v_sub_f32_e32 v4, v9, v4
	v_sub_f32_e32 v5, v27, v5
	v_add_f32_e32 v10, v18, v10
	v_sub_f32_e32 v12, v16, v7
	v_sub_f32_e32 v13, v29, v13
	v_sub_f32_e32 v11, v24, v19
	v_add_f32_e32 v14, v25, v14
	v_sub_f32_e32 v15, v26, v15
	v_fma_f32 v8, v9, 2.0, -v4
	v_fma_f32 v9, v27, 2.0, -v5
	;; [unrolled: 1-line block ×8, first 2 shown]
	ds_write2_b64 v71, v[8:9], v[16:17] offset1:52
	ds_write2_b64 v71, v[6:7], v[18:19] offset0:143 offset1:195
	ds_write2_b64 v36, v[4:5], v[12:13] offset0:30 offset1:82
	;; [unrolled: 1-line block ×3, first 2 shown]
	s_and_saveexec_b32 s1, s0
	s_cbranch_execz .LBB0_21
; %bb.20:
	v_mul_f32_e32 v4, v23, v32
	v_mul_f32_e32 v5, v21, v3
	;; [unrolled: 1-line block ×6, first 2 shown]
	v_fma_f32 v4, v22, v33, -v4
	v_fmac_f32_e32 v5, v20, v2
	v_fma_f32 v2, v20, v3, -v7
	v_fma_f32 v3, v63, v35, -v8
	v_fmac_f32_e32 v6, v22, v32
	v_fmac_f32_e32 v9, v63, v34
	v_sub_f32_e32 v4, v1, v4
	v_sub_f32_e32 v3, v2, v3
	;; [unrolled: 1-line block ×4, first 2 shown]
	v_fma_f32 v8, v1, 2.0, -v4
	v_fma_f32 v2, v2, 2.0, -v3
	;; [unrolled: 1-line block ×4, first 2 shown]
	v_sub_f32_e32 v1, v4, v7
	v_add_f32_e32 v0, v6, v3
	v_sub_f32_e32 v3, v8, v2
	v_sub_f32_e32 v2, v9, v5
	v_fma_f32 v5, v4, 2.0, -v1
	v_fma_f32 v4, v6, 2.0, -v0
	;; [unrolled: 1-line block ×3, first 2 shown]
	v_add_nc_u32_e32 v8, 0xc00, v71
	v_fma_f32 v6, v9, 2.0, -v2
	ds_write2_b64 v71, v[6:7], v[4:5] offset0:104 offset1:247
	ds_write2_b64 v8, v[2:3], v[0:1] offset0:6 offset1:149
.LBB0_21:
	s_or_b32 exec_lo, exec_lo, s1
	s_waitcnt lgkmcnt(0)
	s_barrier
	buffer_gl0_inv
	s_and_b32 exec_lo, exec_lo, vcc_lo
	s_cbranch_execz .LBB0_23
; %bb.22:
	v_add_co_u32 v70, s0, s14, v71
	s_clause 0x5
	global_load_dwordx2 v[24:25], v71, s[14:15]
	global_load_dwordx2 v[26:27], v71, s[14:15] offset:352
	global_load_dwordx2 v[28:29], v71, s[14:15] offset:704
	;; [unrolled: 1-line block ×5, first 2 shown]
	v_add_co_ci_u32_e64 v73, null, s15, 0, s0
	v_add_co_u32 v0, vcc_lo, 0x800, v70
	v_mad_u64_u32 v[4:5], null, s4, v72, 0
	v_add_co_ci_u32_e32 v1, vcc_lo, 0, v73, vcc_lo
	v_add_nc_u32_e32 v8, 0x400, v71
	s_clause 0x5
	global_load_dwordx2 v[36:37], v[0:1], off offset:64
	global_load_dwordx2 v[38:39], v[0:1], off offset:416
	;; [unrolled: 1-line block ×6, first 2 shown]
	v_mad_u64_u32 v[0:1], null, s6, v60, 0
	v_mov_b32_e32 v2, v5
	ds_read_b64 v[48:49], v71
	ds_read2_b64 v[8:11], v8 offset0:92 offset1:136
	v_add_nc_u32_e32 v16, 0x800, v71
	v_add_nc_u32_e32 v20, 0xc00, v71
	s_mul_i32 s2, s5, 0x160
	v_mad_u64_u32 v[5:6], null, s7, v60, v[1:2]
	v_mad_u64_u32 v[2:3], null, s5, v72, v[2:3]
	ds_read2_b64 v[12:15], v16 offset0:52 offset1:96
	ds_read2_b64 v[16:19], v16 offset0:140 offset1:184
	;; [unrolled: 1-line block ×3, first 2 shown]
	s_mul_hi_u32 s3, s4, 0x160
	v_mov_b32_e32 v1, v5
	s_mulk_i32 s4, 0x160
	v_mov_b32_e32 v5, v2
	s_add_i32 s3, s3, s2
	s_mov_b32 s0, 0x55ee191
	v_lshlrev_b64 v[6:7], 3, v[0:1]
	ds_read2_b64 v[0:3], v71 offset0:44 offset1:88
	v_lshlrev_b64 v[4:5], 3, v[4:5]
	s_mov_b32 s1, 0x3f5ca4b3
	v_add_co_u32 v6, vcc_lo, s12, v6
	v_add_co_ci_u32_e32 v7, vcc_lo, s13, v7, vcc_lo
	v_add_co_u32 v50, vcc_lo, v6, v4
	v_add_co_ci_u32_e32 v51, vcc_lo, v7, v5, vcc_lo
	ds_read2_b64 v[4:7], v71 offset0:132 offset1:176
	v_add_co_u32 v52, vcc_lo, v50, s4
	v_add_co_ci_u32_e32 v53, vcc_lo, s3, v51, vcc_lo
	v_add_co_u32 v54, vcc_lo, v52, s4
	v_add_co_ci_u32_e32 v55, vcc_lo, s3, v53, vcc_lo
	;; [unrolled: 2-line block ×9, first 2 shown]
	s_waitcnt vmcnt(11) lgkmcnt(6)
	v_mul_f32_e32 v71, v49, v25
	s_waitcnt vmcnt(10) lgkmcnt(1)
	v_mul_f32_e32 v72, v1, v27
	s_waitcnt vmcnt(9)
	v_mul_f32_e32 v74, v3, v29
	v_mul_f32_e32 v25, v48, v25
	;; [unrolled: 1-line block ×4, first 2 shown]
	s_waitcnt vmcnt(8) lgkmcnt(0)
	v_mul_f32_e32 v75, v5, v31
	s_waitcnt vmcnt(7)
	v_mul_f32_e32 v76, v7, v33
	s_waitcnt vmcnt(6)
	v_mul_f32_e32 v77, v9, v35
	v_fmac_f32_e32 v71, v48, v24
	v_mul_f32_e32 v31, v4, v31
	v_fmac_f32_e32 v72, v0, v26
	;; [unrolled: 2-line block ×3, first 2 shown]
	v_mul_f32_e32 v33, v6, v33
	v_fma_f32 v24, v24, v49, -v25
	v_fma_f32 v25, v26, v1, -v27
	;; [unrolled: 1-line block ×3, first 2 shown]
	v_fmac_f32_e32 v75, v4, v30
	v_fmac_f32_e32 v76, v6, v32
	;; [unrolled: 1-line block ×3, first 2 shown]
	v_cvt_f64_f32_e32 v[0:1], v71
	s_waitcnt vmcnt(5)
	v_mul_f32_e32 v71, v11, v37
	v_mul_f32_e32 v37, v10, v37
	v_fma_f32 v28, v30, v5, -v31
	v_cvt_f64_f32_e32 v[4:5], v72
	s_waitcnt vmcnt(4)
	v_mul_f32_e32 v72, v13, v39
	v_mul_f32_e32 v39, v12, v39
	v_fma_f32 v48, v34, v9, -v35
	;; [unrolled: 5-line block ×3, first 2 shown]
	v_cvt_f64_f32_e32 v[2:3], v24
	v_cvt_f64_f32_e32 v[6:7], v25
	;; [unrolled: 1-line block ×4, first 2 shown]
	s_waitcnt vmcnt(2)
	v_mul_f32_e32 v75, v17, v43
	v_mul_f32_e32 v43, v16, v43
	v_cvt_f64_f32_e32 v[30:31], v76
	s_waitcnt vmcnt(1)
	v_mul_f32_e32 v76, v19, v45
	v_mul_f32_e32 v45, v18, v45
	v_cvt_f64_f32_e32 v[34:35], v77
	s_waitcnt vmcnt(0)
	v_mul_f32_e32 v77, v21, v47
	v_mul_f32_e32 v47, v20, v47
	v_fmac_f32_e32 v71, v10, v36
	v_fma_f32 v36, v36, v11, -v37
	v_fmac_f32_e32 v72, v12, v38
	v_fma_f32 v37, v38, v13, -v39
	v_cvt_f64_f32_e32 v[28:29], v28
	v_fmac_f32_e32 v74, v14, v40
	v_fma_f32 v38, v40, v15, -v41
	v_cvt_f64_f32_e32 v[32:33], v32
	v_fmac_f32_e32 v75, v16, v42
	v_fma_f32 v39, v42, v17, -v43
	v_cvt_f64_f32_e32 v[48:49], v48
	v_fmac_f32_e32 v76, v18, v44
	v_fma_f32 v42, v44, v19, -v45
	v_fmac_f32_e32 v77, v20, v46
	v_fma_f32 v46, v46, v21, -v47
	v_cvt_f64_f32_e32 v[10:11], v71
	v_cvt_f64_f32_e32 v[12:13], v36
	;; [unrolled: 1-line block ×12, first 2 shown]
	v_mul_f64 v[0:1], v[0:1], s[0:1]
	v_mul_f64 v[2:3], v[2:3], s[0:1]
	;; [unrolled: 1-line block ×24, first 2 shown]
	v_cvt_f32_f64_e32 v0, v[0:1]
	v_cvt_f32_f64_e32 v1, v[2:3]
	;; [unrolled: 1-line block ×24, first 2 shown]
	v_add_co_u32 v26, vcc_lo, v68, s4
	v_add_co_ci_u32_e32 v27, vcc_lo, s3, v69, vcc_lo
	v_add_co_u32 v28, vcc_lo, 0x1000, v70
	v_add_co_ci_u32_e32 v29, vcc_lo, 0, v73, vcc_lo
	;; [unrolled: 2-line block ×3, first 2 shown]
	global_store_dwordx2 v[50:51], v[0:1], off
	global_store_dwordx2 v[52:53], v[2:3], off
	;; [unrolled: 1-line block ×12, first 2 shown]
	global_load_dwordx2 v[0:1], v[28:29], off offset:128
	s_waitcnt vmcnt(0)
	v_mul_f32_e32 v2, v23, v1
	v_mul_f32_e32 v1, v22, v1
	v_fmac_f32_e32 v2, v22, v0
	v_fma_f32 v3, v0, v23, -v1
	v_cvt_f64_f32_e32 v[0:1], v2
	v_cvt_f64_f32_e32 v[2:3], v3
	v_mul_f64 v[0:1], v[0:1], s[0:1]
	v_mul_f64 v[2:3], v[2:3], s[0:1]
	v_cvt_f32_f64_e32 v0, v[0:1]
	v_cvt_f32_f64_e32 v1, v[2:3]
	v_add_co_u32 v2, vcc_lo, v30, s4
	v_add_co_ci_u32_e32 v3, vcc_lo, s3, v31, vcc_lo
	global_store_dwordx2 v[2:3], v[0:1], off
.LBB0_23:
	s_endpgm
	.section	.rodata,"a",@progbits
	.p2align	6, 0x0
	.amdhsa_kernel bluestein_single_fwd_len572_dim1_sp_op_CI_CI
		.amdhsa_group_segment_fixed_size 4576
		.amdhsa_private_segment_fixed_size 0
		.amdhsa_kernarg_size 104
		.amdhsa_user_sgpr_count 6
		.amdhsa_user_sgpr_private_segment_buffer 1
		.amdhsa_user_sgpr_dispatch_ptr 0
		.amdhsa_user_sgpr_queue_ptr 0
		.amdhsa_user_sgpr_kernarg_segment_ptr 1
		.amdhsa_user_sgpr_dispatch_id 0
		.amdhsa_user_sgpr_flat_scratch_init 0
		.amdhsa_user_sgpr_private_segment_size 0
		.amdhsa_wavefront_size32 1
		.amdhsa_uses_dynamic_stack 0
		.amdhsa_system_sgpr_private_segment_wavefront_offset 0
		.amdhsa_system_sgpr_workgroup_id_x 1
		.amdhsa_system_sgpr_workgroup_id_y 0
		.amdhsa_system_sgpr_workgroup_id_z 0
		.amdhsa_system_sgpr_workgroup_info 0
		.amdhsa_system_vgpr_workitem_id 0
		.amdhsa_next_free_vgpr 178
		.amdhsa_next_free_sgpr 16
		.amdhsa_reserve_vcc 1
		.amdhsa_reserve_flat_scratch 0
		.amdhsa_float_round_mode_32 0
		.amdhsa_float_round_mode_16_64 0
		.amdhsa_float_denorm_mode_32 3
		.amdhsa_float_denorm_mode_16_64 3
		.amdhsa_dx10_clamp 1
		.amdhsa_ieee_mode 1
		.amdhsa_fp16_overflow 0
		.amdhsa_workgroup_processor_mode 1
		.amdhsa_memory_ordered 1
		.amdhsa_forward_progress 0
		.amdhsa_shared_vgpr_count 0
		.amdhsa_exception_fp_ieee_invalid_op 0
		.amdhsa_exception_fp_denorm_src 0
		.amdhsa_exception_fp_ieee_div_zero 0
		.amdhsa_exception_fp_ieee_overflow 0
		.amdhsa_exception_fp_ieee_underflow 0
		.amdhsa_exception_fp_ieee_inexact 0
		.amdhsa_exception_int_div_zero 0
	.end_amdhsa_kernel
	.text
.Lfunc_end0:
	.size	bluestein_single_fwd_len572_dim1_sp_op_CI_CI, .Lfunc_end0-bluestein_single_fwd_len572_dim1_sp_op_CI_CI
                                        ; -- End function
	.section	.AMDGPU.csdata,"",@progbits
; Kernel info:
; codeLenInByte = 15156
; NumSgprs: 18
; NumVgprs: 178
; ScratchSize: 0
; MemoryBound: 0
; FloatMode: 240
; IeeeMode: 1
; LDSByteSize: 4576 bytes/workgroup (compile time only)
; SGPRBlocks: 2
; VGPRBlocks: 22
; NumSGPRsForWavesPerEU: 18
; NumVGPRsForWavesPerEU: 178
; Occupancy: 5
; WaveLimiterHint : 1
; COMPUTE_PGM_RSRC2:SCRATCH_EN: 0
; COMPUTE_PGM_RSRC2:USER_SGPR: 6
; COMPUTE_PGM_RSRC2:TRAP_HANDLER: 0
; COMPUTE_PGM_RSRC2:TGID_X_EN: 1
; COMPUTE_PGM_RSRC2:TGID_Y_EN: 0
; COMPUTE_PGM_RSRC2:TGID_Z_EN: 0
; COMPUTE_PGM_RSRC2:TIDIG_COMP_CNT: 0
	.text
	.p2alignl 6, 3214868480
	.fill 48, 4, 3214868480
	.type	__hip_cuid_e47f58365ec26d27,@object ; @__hip_cuid_e47f58365ec26d27
	.section	.bss,"aw",@nobits
	.globl	__hip_cuid_e47f58365ec26d27
__hip_cuid_e47f58365ec26d27:
	.byte	0                               ; 0x0
	.size	__hip_cuid_e47f58365ec26d27, 1

	.ident	"AMD clang version 19.0.0git (https://github.com/RadeonOpenCompute/llvm-project roc-6.4.0 25133 c7fe45cf4b819c5991fe208aaa96edf142730f1d)"
	.section	".note.GNU-stack","",@progbits
	.addrsig
	.addrsig_sym __hip_cuid_e47f58365ec26d27
	.amdgpu_metadata
---
amdhsa.kernels:
  - .args:
      - .actual_access:  read_only
        .address_space:  global
        .offset:         0
        .size:           8
        .value_kind:     global_buffer
      - .actual_access:  read_only
        .address_space:  global
        .offset:         8
        .size:           8
        .value_kind:     global_buffer
      - .actual_access:  read_only
        .address_space:  global
        .offset:         16
        .size:           8
        .value_kind:     global_buffer
      - .actual_access:  read_only
        .address_space:  global
        .offset:         24
        .size:           8
        .value_kind:     global_buffer
      - .actual_access:  read_only
        .address_space:  global
        .offset:         32
        .size:           8
        .value_kind:     global_buffer
      - .offset:         40
        .size:           8
        .value_kind:     by_value
      - .address_space:  global
        .offset:         48
        .size:           8
        .value_kind:     global_buffer
      - .address_space:  global
        .offset:         56
        .size:           8
        .value_kind:     global_buffer
      - .address_space:  global
        .offset:         64
        .size:           8
        .value_kind:     global_buffer
      - .address_space:  global
        .offset:         72
        .size:           8
        .value_kind:     global_buffer
      - .offset:         80
        .size:           4
        .value_kind:     by_value
      - .address_space:  global
        .offset:         88
        .size:           8
        .value_kind:     global_buffer
      - .address_space:  global
        .offset:         96
        .size:           8
        .value_kind:     global_buffer
    .group_segment_fixed_size: 4576
    .kernarg_segment_align: 8
    .kernarg_segment_size: 104
    .language:       OpenCL C
    .language_version:
      - 2
      - 0
    .max_flat_workgroup_size: 52
    .name:           bluestein_single_fwd_len572_dim1_sp_op_CI_CI
    .private_segment_fixed_size: 0
    .sgpr_count:     18
    .sgpr_spill_count: 0
    .symbol:         bluestein_single_fwd_len572_dim1_sp_op_CI_CI.kd
    .uniform_work_group_size: 1
    .uses_dynamic_stack: false
    .vgpr_count:     178
    .vgpr_spill_count: 0
    .wavefront_size: 32
    .workgroup_processor_mode: 1
amdhsa.target:   amdgcn-amd-amdhsa--gfx1030
amdhsa.version:
  - 1
  - 2
...

	.end_amdgpu_metadata
